;; amdgpu-corpus repo=ROCm/rocFFT kind=compiled arch=gfx950 opt=O3
	.text
	.amdgcn_target "amdgcn-amd-amdhsa--gfx950"
	.amdhsa_code_object_version 6
	.protected	bluestein_single_back_len1584_dim1_dp_op_CI_CI ; -- Begin function bluestein_single_back_len1584_dim1_dp_op_CI_CI
	.globl	bluestein_single_back_len1584_dim1_dp_op_CI_CI
	.p2align	8
	.type	bluestein_single_back_len1584_dim1_dp_op_CI_CI,@function
bluestein_single_back_len1584_dim1_dp_op_CI_CI: ; @bluestein_single_back_len1584_dim1_dp_op_CI_CI
; %bb.0:
	s_load_dwordx4 s[8:11], s[0:1], 0x28
	v_mul_u32_u24_e32 v1, 0x175, v0
	v_mov_b32_e32 v173, 0
	v_add_u32_sdwa v22, s2, v1 dst_sel:DWORD dst_unused:UNUSED_PAD src0_sel:DWORD src1_sel:WORD_1
	v_mov_b32_e32 v23, v173
	s_waitcnt lgkmcnt(0)
	v_cmp_gt_u64_e32 vcc, s[8:9], v[22:23]
	s_and_saveexec_b64 s[2:3], vcc
	s_cbranch_execz .LBB0_39
; %bb.1:
	s_load_dwordx4 s[4:7], s[0:1], 0x18
	s_load_dwordx2 s[14:15], s[0:1], 0x0
	v_mov_b32_e32 v2, s10
	v_mov_b32_e32 v3, s11
	s_movk_i32 s2, 0xb0
	s_waitcnt lgkmcnt(0)
	s_load_dwordx4 s[8:11], s[4:5], 0x0
	v_mul_lo_u16_sdwa v1, v1, s2 dst_sel:DWORD dst_unused:UNUSED_PAD src0_sel:WORD_1 src1_sel:DWORD
	v_sub_u16_e32 v172, v0, v1
	v_lshlrev_b32_e32 v168, 4, v172
	v_mov_b32_e32 v169, v173
	s_waitcnt lgkmcnt(0)
	v_mad_u64_u32 v[0:1], s[2:3], s10, v22, 0
	v_mov_b32_e32 v4, v1
	v_mad_u64_u32 v[4:5], s[2:3], s11, v22, v[4:5]
	v_mov_b32_e32 v1, v4
	v_mad_u64_u32 v[4:5], s[2:3], s8, v172, 0
	v_mov_b32_e32 v6, v5
	v_mad_u64_u32 v[6:7], s[2:3], s9, v172, v[6:7]
	s_mul_i32 s2, s9, 0x18c
	s_mul_hi_u32 s3, s8, 0x18c
	v_mov_b32_e32 v5, v6
	v_lshl_add_u64 v[0:1], v[0:1], 4, v[2:3]
	s_add_i32 s3, s3, s2
	s_mul_i32 s2, s8, 0x18c
	v_lshl_add_u64 v[4:5], v[4:5], 4, v[0:1]
	v_lshl_add_u64 v[170:171], s[14:15], 0, v[168:169]
	s_lshl_b64 s[2:3], s[2:3], 4
	s_movk_i32 s4, 0x1000
	global_load_dwordx4 v[232:235], v168, s[14:15]
	v_lshl_add_u64 v[8:9], v[4:5], 0, s[2:3]
	global_load_dwordx4 v[38:41], v[4:5], off
	global_load_dwordx4 v[42:45], v[8:9], off
	v_add_co_u32_e32 v4, vcc, s4, v170
	s_movk_i32 s4, 0x3000
	s_nop 0
	v_addc_co_u32_e32 v5, vcc, 0, v171, vcc
	v_add_co_u32_e32 v28, vcc, s4, v170
	s_movk_i32 s4, 0x4000
	s_nop 0
	v_addc_co_u32_e32 v29, vcc, 0, v171, vcc
	global_load_dwordx4 v[236:239], v[4:5], off offset:2240
	v_lshl_add_u64 v[12:13], v[8:9], 0, s[2:3]
	v_add_co_u32_e32 v32, vcc, s4, v170
	s_mul_hi_u32 s5, s8, 0xfffffc0c
	v_lshl_add_u64 v[16:17], v[12:13], 0, s[2:3]
	v_addc_co_u32_e32 v33, vcc, 0, v171, vcc
	s_mul_i32 s4, s9, 0xfffffc0c
	s_sub_i32 s5, s5, s8
	global_load_dwordx4 v[46:49], v[12:13], off
	global_load_dwordx4 v[50:53], v[16:17], off
	global_load_dwordx4 v[240:243], v[28:29], off offset:384
	global_load_dwordx4 v[244:247], v[32:33], off offset:2624
	s_add_i32 s5, s5, s4
	s_mul_i32 s4, s8, 0xfffffc0c
	v_lshl_add_u64 v[20:21], s[4:5], 4, v[16:17]
	s_movk_i32 s8, 0x2000
	global_load_dwordx4 v[54:57], v[20:21], off
	global_load_dwordx4 v[248:251], v168, s[14:15] offset:2816
	v_add_co_u32_e32 v34, vcc, s8, v170
	v_lshl_add_u64 v[24:25], v[20:21], 0, s[2:3]
	s_nop 0
	v_addc_co_u32_e32 v35, vcc, 0, v171, vcc
	global_load_dwordx4 v[58:61], v[24:25], off
	global_load_dwordx4 v[252:255], v[34:35], off offset:960
	v_lshl_add_u64 v[30:31], v[24:25], 0, s[2:3]
	s_movk_i32 s8, 0x5000
	global_load_dwordx4 v[62:65], v[30:31], off
	global_load_dwordx4 v[0:3], v[28:29], off offset:3200
	v_add_co_u32_e32 v70, vcc, s8, v170
	v_lshl_add_u64 v[36:37], v[30:31], 0, s[2:3]
	s_nop 0
	v_addc_co_u32_e32 v71, vcc, 0, v171, vcc
	global_load_dwordx4 v[4:7], v[70:71], off offset:1344
	global_load_dwordx4 v[66:69], v[36:37], off
	s_load_dwordx2 s[12:13], s[0:1], 0x38
	s_load_dwordx4 s[8:11], s[6:7], 0x0
	v_cmp_gt_u16_e64 s[6:7], 44, v172
	s_waitcnt vmcnt(14)
	v_mul_f64 v[70:71], v[40:41], v[234:235]
	v_mul_f64 v[72:73], v[38:39], v[234:235]
	v_fmac_f64_e32 v[70:71], v[38:39], v[232:233]
	v_fma_f64 v[72:73], v[40:41], v[232:233], -v[72:73]
	ds_write_b128 v168, v[70:73]
	s_waitcnt vmcnt(12)
	v_mul_f64 v[38:39], v[44:45], v[238:239]
	v_mul_f64 v[40:41], v[42:43], v[238:239]
	v_fmac_f64_e32 v[38:39], v[42:43], v[236:237]
	v_fma_f64 v[40:41], v[44:45], v[236:237], -v[40:41]
	ds_write_b128 v168, v[38:41] offset:6336
	s_waitcnt vmcnt(9)
	v_mul_f64 v[42:43], v[48:49], v[242:243]
	s_waitcnt vmcnt(8)
	v_mul_f64 v[38:39], v[52:53], v[246:247]
	v_mul_f64 v[40:41], v[50:51], v[246:247]
	v_fmac_f64_e32 v[38:39], v[50:51], v[244:245]
	v_fma_f64 v[40:41], v[52:53], v[244:245], -v[40:41]
	ds_write_b128 v168, v[38:41] offset:19008
	s_waitcnt vmcnt(6)
	v_mul_f64 v[38:39], v[56:57], v[250:251]
	v_mul_f64 v[40:41], v[54:55], v[250:251]
	v_fmac_f64_e32 v[38:39], v[54:55], v[248:249]
	v_fma_f64 v[40:41], v[56:57], v[248:249], -v[40:41]
	ds_write_b128 v168, v[38:41] offset:2816
	v_mul_f64 v[44:45], v[46:47], v[242:243]
	v_fmac_f64_e32 v[42:43], v[46:47], v[240:241]
	s_waitcnt vmcnt(4)
	v_mul_f64 v[38:39], v[60:61], v[254:255]
	v_mul_f64 v[40:41], v[58:59], v[254:255]
	v_fmac_f64_e32 v[38:39], v[58:59], v[252:253]
	v_fma_f64 v[40:41], v[60:61], v[252:253], -v[40:41]
	ds_write_b128 v168, v[38:41] offset:9152
	s_waitcnt vmcnt(2)
	v_mul_f64 v[38:39], v[64:65], v[2:3]
	v_mul_f64 v[40:41], v[62:63], v[2:3]
	v_fmac_f64_e32 v[38:39], v[62:63], v[0:1]
	v_fma_f64 v[40:41], v[64:65], v[0:1], -v[40:41]
	v_accvgpr_write_b32 a27, v3
	ds_write_b128 v168, v[38:41] offset:15488
	s_waitcnt vmcnt(0)
	v_mul_f64 v[38:39], v[68:69], v[6:7]
	v_mul_f64 v[40:41], v[66:67], v[6:7]
	v_accvgpr_write_b32 a31, v7
	v_fma_f64 v[44:45], v[48:49], v[240:241], -v[44:45]
	v_accvgpr_write_b32 a26, v2
	v_accvgpr_write_b32 a25, v1
	;; [unrolled: 1-line block ×3, first 2 shown]
	v_fmac_f64_e32 v[38:39], v[66:67], v[4:5]
	v_accvgpr_write_b32 a30, v6
	v_accvgpr_write_b32 a29, v5
	;; [unrolled: 1-line block ×3, first 2 shown]
	v_fma_f64 v[40:41], v[68:69], v[4:5], -v[40:41]
	ds_write_b128 v168, v[42:45] offset:12672
	ds_write_b128 v168, v[38:41] offset:21824
	s_and_saveexec_b64 s[16:17], s[6:7]
	s_cbranch_execz .LBB0_3
; %bb.2:
	v_lshl_add_u64 v[44:45], s[4:5], 4, v[36:37]
	v_add_co_u32_e32 v40, vcc, 0x1000, v170
	v_lshl_add_u64 v[52:53], v[44:45], 0, s[2:3]
	s_nop 0
	v_addc_co_u32_e32 v41, vcc, 0, v171, vcc
	global_load_dwordx4 v[36:39], v[44:45], off
	s_nop 0
	global_load_dwordx4 v[40:43], v[40:41], off offset:1536
	s_nop 0
	global_load_dwordx4 v[44:47], v[52:53], off
	global_load_dwordx4 v[48:51], v[34:35], off offset:3776
	v_lshl_add_u64 v[34:35], v[52:53], 0, s[2:3]
	v_lshl_add_u64 v[64:65], v[34:35], 0, s[2:3]
	s_movk_i32 s2, 0x6000
	v_add_co_u32_e32 v66, vcc, s2, v170
	global_load_dwordx4 v[52:55], v[34:35], off
	global_load_dwordx4 v[56:59], v[32:33], off offset:1920
	v_addc_co_u32_e32 v67, vcc, 0, v171, vcc
	global_load_dwordx4 v[32:35], v[66:67], off offset:64
	global_load_dwordx4 v[60:63], v[64:65], off
	s_waitcnt vmcnt(6)
	v_mul_f64 v[64:65], v[38:39], v[42:43]
	v_mul_f64 v[66:67], v[36:37], v[42:43]
	s_waitcnt vmcnt(4)
	v_mul_f64 v[42:43], v[46:47], v[50:51]
	v_mul_f64 v[50:51], v[44:45], v[50:51]
	v_fmac_f64_e32 v[64:65], v[36:37], v[40:41]
	v_fma_f64 v[66:67], v[38:39], v[40:41], -v[66:67]
	v_fmac_f64_e32 v[42:43], v[44:45], v[48:49]
	s_waitcnt vmcnt(2)
	v_mul_f64 v[36:37], v[54:55], v[58:59]
	v_mul_f64 v[38:39], v[52:53], v[58:59]
	v_fma_f64 v[44:45], v[46:47], v[48:49], -v[50:51]
	s_waitcnt vmcnt(0)
	v_mul_f64 v[40:41], v[62:63], v[34:35]
	v_mul_f64 v[34:35], v[60:61], v[34:35]
	ds_write_b128 v168, v[64:67] offset:5632
	ds_write_b128 v168, v[42:45] offset:11968
	v_fmac_f64_e32 v[36:37], v[52:53], v[56:57]
	v_fma_f64 v[38:39], v[54:55], v[56:57], -v[38:39]
	v_fmac_f64_e32 v[40:41], v[60:61], v[32:33]
	v_fma_f64 v[42:43], v[62:63], v[32:33], -v[34:35]
	ds_write_b128 v168, v[36:39] offset:18304
	ds_write_b128 v168, v[40:43] offset:24640
.LBB0_3:
	s_or_b64 exec, exec, s[16:17]
	s_waitcnt lgkmcnt(0)
	s_barrier
	ds_read_b128 v[64:67], v168
	ds_read_b128 v[44:47], v168 offset:2816
	ds_read_b128 v[68:71], v168 offset:6336
	;; [unrolled: 1-line block ×7, first 2 shown]
                                        ; implicit-def: $vgpr32_vgpr33
                                        ; implicit-def: $vgpr60_vgpr61
                                        ; implicit-def: $vgpr52_vgpr53
                                        ; implicit-def: $vgpr36_vgpr37
	s_and_saveexec_b64 s[2:3], s[6:7]
	s_cbranch_execz .LBB0_5
; %bb.4:
	ds_read_b128 v[32:35], v168 offset:5632
	ds_read_b128 v[36:39], v168 offset:11968
	;; [unrolled: 1-line block ×4, first 2 shown]
.LBB0_5:
	s_or_b64 exec, exec, s[2:3]
	s_waitcnt lgkmcnt(3)
	v_add_f64 v[76:77], v[64:65], -v[76:77]
	v_add_f64 v[78:79], v[66:67], -v[78:79]
	s_waitcnt lgkmcnt(1)
	v_add_f64 v[86:87], v[68:69], -v[72:73]
	v_add_f64 v[72:73], v[70:71], -v[74:75]
	v_fma_f64 v[82:83], v[64:65], 2.0, -v[76:77]
	v_fma_f64 v[84:85], v[66:67], 2.0, -v[78:79]
	;; [unrolled: 1-line block ×4, first 2 shown]
	v_add_f64 v[64:65], v[82:83], -v[64:65]
	v_add_f64 v[66:67], v[84:85], -v[66:67]
	v_fma_f64 v[68:69], v[82:83], 2.0, -v[64:65]
	v_fma_f64 v[70:71], v[84:85], 2.0, -v[66:67]
	v_add_f64 v[74:75], v[78:79], v[86:87]
	v_add_f64 v[82:83], v[44:45], -v[56:57]
	v_add_f64 v[84:85], v[46:47], -v[58:59]
	s_waitcnt lgkmcnt(0)
	v_add_f64 v[86:87], v[40:41], -v[48:49]
	v_add_f64 v[88:89], v[42:43], -v[50:51]
	v_fma_f64 v[44:45], v[44:45], 2.0, -v[82:83]
	v_fma_f64 v[46:47], v[46:47], 2.0, -v[84:85]
	;; [unrolled: 1-line block ×4, first 2 shown]
	s_load_dwordx2 s[0:1], s[0:1], 0x8
	s_mov_b64 s[2:3], 0xb0
	v_add_f64 v[48:49], v[44:45], -v[40:41]
	v_add_f64 v[50:51], v[46:47], -v[42:43]
	v_lshl_add_u64 v[80:81], v[172:173], 0, s[2:3]
	s_mov_b64 s[2:3], 0x160
	v_fma_f64 v[56:57], v[44:45], 2.0, -v[48:49]
	v_fma_f64 v[58:59], v[46:47], 2.0, -v[50:51]
	v_add_f64 v[44:45], v[32:33], -v[52:53]
	v_add_f64 v[46:47], v[34:35], -v[54:55]
	;; [unrolled: 1-line block ×4, first 2 shown]
	v_lshl_add_u64 v[132:133], v[172:173], 0, s[2:3]
	v_add_f64 v[90:91], v[84:85], v[86:87]
	v_fma_f64 v[32:33], v[32:33], 2.0, -v[44:45]
	v_fma_f64 v[34:35], v[34:35], 2.0, -v[46:47]
	;; [unrolled: 1-line block ×4, first 2 shown]
	v_lshlrev_b16_e32 v0, 2, v172
	v_fma_f64 v[94:95], v[84:85], 2.0, -v[90:91]
	v_add_f64 v[84:85], v[32:33], -v[36:37]
	v_add_f64 v[86:87], v[34:35], -v[38:39]
	;; [unrolled: 1-line block ×3, first 2 shown]
	v_add_f64 v[38:39], v[46:47], v[52:53]
	v_lshlrev_b32_e32 v169, 4, v0
	v_lshlrev_b32_e32 v0, 6, v132
	v_add_f64 v[72:73], v[76:77], -v[72:73]
	v_add_f64 v[88:89], v[82:83], -v[88:89]
	v_fma_f64 v[40:41], v[32:33], 2.0, -v[84:85]
	v_fma_f64 v[42:43], v[34:35], 2.0, -v[86:87]
	;; [unrolled: 1-line block ×4, first 2 shown]
	v_lshlrev_b32_e32 v23, 6, v80
	v_accvgpr_write_b32 a34, v0
	v_fma_f64 v[76:77], v[76:77], 2.0, -v[72:73]
	v_fma_f64 v[78:79], v[78:79], 2.0, -v[74:75]
	;; [unrolled: 1-line block ×3, first 2 shown]
	s_waitcnt lgkmcnt(0)
	s_barrier
	ds_write_b128 v169, v[68:71]
	ds_write_b128 v169, v[76:79] offset:16
	ds_write_b128 v169, v[64:67] offset:32
	;; [unrolled: 1-line block ×3, first 2 shown]
	ds_write_b128 v23, v[56:59]
	ds_write_b128 v23, v[92:95] offset:16
	ds_write_b128 v23, v[48:51] offset:32
	;; [unrolled: 1-line block ×3, first 2 shown]
	s_and_saveexec_b64 s[2:3], s[6:7]
	s_cbranch_execz .LBB0_7
; %bb.6:
	v_accvgpr_read_b32 v0, a34
	ds_write_b128 v0, v[40:43]
	ds_write_b128 v0, v[44:47] offset:16
	ds_write_b128 v0, v[84:87] offset:32
	;; [unrolled: 1-line block ×3, first 2 shown]
.LBB0_7:
	s_or_b64 exec, exec, s[2:3]
	s_waitcnt lgkmcnt(0)
	s_barrier
	ds_read_b128 v[48:51], v168
	ds_read_b128 v[52:55], v168 offset:2816
	ds_read_b128 v[68:71], v168 offset:12672
	;; [unrolled: 1-line block ×7, first 2 shown]
	s_movk_i32 s2, 0x58
	v_cmp_gt_u16_e64 s[2:3], s2, v172
	s_and_saveexec_b64 s[4:5], s[2:3]
	s_cbranch_execz .LBB0_9
; %bb.8:
	ds_read_b128 v[40:43], v168 offset:11264
	ds_read_b128 v[44:47], v168 offset:23936
.LBB0_9:
	s_or_b64 exec, exec, s[4:5]
	v_and_b32_e32 v3, 3, v172
	v_lshlrev_b32_e32 v0, 4, v3
	global_load_dwordx4 v[32:35], v0, s[0:1]
	v_lshlrev_b32_e32 v133, 1, v172
	s_movk_i32 s17, 0x1f8
	v_lshlrev_b32_e32 v6, 1, v80
	s_movk_i32 s18, 0x3f8
	;; [unrolled: 2-line block ×3, first 2 shown]
	v_and_or_b32 v0, v133, s17, v3
	v_add_u32_e32 v129, 0x420, v133
	s_mov_b64 s[4:5], 0x2c0
	v_and_or_b32 v1, v6, s18, v3
	v_and_or_b32 v2, v128, s16, v3
	v_lshlrev_b32_e32 v5, 4, v0
	v_and_or_b32 v0, v129, s16, v3
	v_lshl_add_u64 v[88:89], v[172:173], 0, s[4:5]
	v_lshlrev_b32_e32 v4, 4, v1
	v_lshlrev_b32_e32 v1, 4, v2
	v_lshlrev_b32_e32 v0, 4, v0
	v_accvgpr_write_b32 a33, v3
	v_accvgpr_write_b32 a38, v5
	v_accvgpr_write_b32 a37, v4
	v_accvgpr_write_b32 a36, v1
	v_accvgpr_write_b32 a35, v0
	v_lshlrev_b32_e32 v175, 1, v88
	s_waitcnt lgkmcnt(0)
	s_barrier
	s_waitcnt vmcnt(0)
	v_mul_f64 v[80:81], v[70:71], v[34:35]
	v_mul_f64 v[82:83], v[68:69], v[34:35]
	;; [unrolled: 1-line block ×10, first 2 shown]
	v_fma_f64 v[68:69], v[68:69], v[32:33], -v[80:81]
	v_fmac_f64_e32 v[82:83], v[70:71], v[32:33]
	v_fma_f64 v[64:65], v[64:65], v[32:33], -v[90:91]
	v_fmac_f64_e32 v[92:93], v[66:67], v[32:33]
	v_fma_f64 v[66:67], v[76:77], v[32:33], -v[94:95]
	v_fma_f64 v[44:45], v[44:45], v[32:33], -v[102:103]
	v_fmac_f64_e32 v[104:105], v[46:47], v[32:33]
	v_fmac_f64_e32 v[96:97], v[78:79], v[32:33]
	v_fma_f64 v[80:81], v[72:73], v[32:33], -v[98:99]
	v_fmac_f64_e32 v[100:101], v[74:75], v[32:33]
	v_add_f64 v[68:69], v[48:49], -v[68:69]
	v_add_f64 v[70:71], v[50:51], -v[82:83]
	;; [unrolled: 1-line block ×10, first 2 shown]
	v_fma_f64 v[48:49], v[48:49], 2.0, -v[68:69]
	v_fma_f64 v[50:51], v[50:51], 2.0, -v[70:71]
	;; [unrolled: 1-line block ×10, first 2 shown]
	ds_write_b128 v5, v[68:71] offset:64
	ds_write_b128 v5, v[48:51]
	ds_write_b128 v4, v[52:55]
	ds_write_b128 v4, v[72:75] offset:64
	ds_write_b128 v1, v[56:59]
	ds_write_b128 v1, v[76:79] offset:64
	;; [unrolled: 2-line block ×3, first 2 shown]
	s_and_saveexec_b64 s[4:5], s[2:3]
	s_cbranch_execz .LBB0_11
; %bb.10:
	v_accvgpr_read_b32 v0, a33
	v_and_or_b32 v0, v175, s16, v0
	v_lshlrev_b32_e32 v0, 4, v0
	ds_write_b128 v0, v[44:47]
	ds_write_b128 v0, v[64:67] offset:64
.LBB0_11:
	s_or_b64 exec, exec, s[4:5]
	s_waitcnt lgkmcnt(0)
	s_barrier
	ds_read_b128 v[60:63], v168
	ds_read_b128 v[56:59], v168 offset:2816
	ds_read_b128 v[80:83], v168 offset:12672
	;; [unrolled: 1-line block ×7, first 2 shown]
	s_and_saveexec_b64 s[4:5], s[2:3]
	s_cbranch_execz .LBB0_13
; %bb.12:
	ds_read_b128 v[44:47], v168 offset:11264
	ds_read_b128 v[64:67], v168 offset:23936
.LBB0_13:
	s_or_b64 exec, exec, s[4:5]
	v_and_b32_e32 v173, 7, v172
	v_lshlrev_b32_e32 v0, 4, v173
	global_load_dwordx4 v[40:43], v0, s[0:1] offset:64
	s_movk_i32 s4, 0x1f0
	v_and_or_b32 v0, v133, s4, v173
	v_lshlrev_b32_e32 v0, 4, v0
	s_movk_i32 s4, 0x3f0
	s_waitcnt lgkmcnt(0)
	s_barrier
	v_accvgpr_write_b32 a39, v0
	s_movk_i32 s16, 0x7f0
	s_waitcnt vmcnt(0)
	v_mul_f64 v[88:89], v[82:83], v[42:43]
	v_fma_f64 v[88:89], v[80:81], v[40:41], -v[88:89]
	v_mul_f64 v[80:81], v[80:81], v[42:43]
	v_fmac_f64_e32 v[80:81], v[82:83], v[40:41]
	v_mul_f64 v[82:83], v[74:75], v[42:43]
	v_fma_f64 v[82:83], v[72:73], v[40:41], -v[82:83]
	v_mul_f64 v[72:73], v[72:73], v[42:43]
	v_fmac_f64_e32 v[72:73], v[74:75], v[40:41]
	v_mul_f64 v[74:75], v[78:79], v[42:43]
	v_add_f64 v[92:93], v[60:61], -v[88:89]
	v_add_f64 v[94:95], v[62:63], -v[80:81]
	v_fma_f64 v[74:75], v[76:77], v[40:41], -v[74:75]
	v_mul_f64 v[76:77], v[76:77], v[42:43]
	v_fma_f64 v[88:89], v[60:61], 2.0, -v[92:93]
	v_fma_f64 v[90:91], v[62:63], 2.0, -v[94:95]
	v_fmac_f64_e32 v[76:77], v[78:79], v[40:41]
	v_mul_f64 v[78:79], v[70:71], v[42:43]
	v_add_f64 v[100:101], v[56:57], -v[82:83]
	v_add_f64 v[102:103], v[58:59], -v[72:73]
	ds_write_b128 v0, v[88:91]
	ds_write_b128 v0, v[92:95] offset:128
	v_and_or_b32 v0, v6, s4, v173
	v_fma_f64 v[78:79], v[68:69], v[40:41], -v[78:79]
	v_mul_f64 v[68:69], v[68:69], v[42:43]
	v_fma_f64 v[96:97], v[56:57], 2.0, -v[100:101]
	v_fma_f64 v[98:99], v[58:59], 2.0, -v[102:103]
	v_lshlrev_b32_e32 v0, 4, v0
	v_fmac_f64_e32 v[68:69], v[70:71], v[40:41]
	v_mul_f64 v[70:71], v[66:67], v[42:43]
	v_add_f64 v[108:109], v[52:53], -v[74:75]
	v_add_f64 v[110:111], v[54:55], -v[76:77]
	ds_write_b128 v0, v[96:99]
	v_accvgpr_write_b32 a41, v0
	ds_write_b128 v0, v[100:103] offset:128
	v_and_or_b32 v0, v128, s16, v173
	v_fma_f64 v[70:71], v[64:65], v[40:41], -v[70:71]
	v_mul_f64 v[64:65], v[64:65], v[42:43]
	v_fma_f64 v[104:105], v[52:53], 2.0, -v[108:109]
	v_fma_f64 v[106:107], v[54:55], 2.0, -v[110:111]
	v_lshlrev_b32_e32 v0, 4, v0
	v_fmac_f64_e32 v[64:65], v[66:67], v[40:41]
	ds_write_b128 v0, v[104:107]
	v_accvgpr_write_b32 a42, v0
	ds_write_b128 v0, v[108:111] offset:128
	v_and_or_b32 v0, v129, s16, v173
	v_add_f64 v[116:117], v[48:49], -v[78:79]
	v_add_f64 v[118:119], v[50:51], -v[68:69]
	;; [unrolled: 1-line block ×4, first 2 shown]
	v_lshlrev_b32_e32 v0, 4, v0
	v_fma_f64 v[112:113], v[48:49], 2.0, -v[116:117]
	v_fma_f64 v[114:115], v[50:51], 2.0, -v[118:119]
	;; [unrolled: 1-line block ×4, first 2 shown]
	v_accvgpr_write_b32 a43, v0
	ds_write_b128 v0, v[112:115]
	ds_write_b128 v0, v[116:119] offset:128
	s_and_saveexec_b64 s[4:5], s[2:3]
	s_cbranch_execz .LBB0_15
; %bb.14:
	v_and_or_b32 v0, v175, s16, v173
	v_lshlrev_b32_e32 v0, 4, v0
	ds_write_b128 v0, v[120:123]
	ds_write_b128 v0, v[124:127] offset:128
.LBB0_15:
	s_or_b64 exec, exec, s[4:5]
	s_movk_i32 s4, 0x90
	v_cmp_gt_u16_e64 s[4:5], s4, v172
	s_waitcnt lgkmcnt(0)
	s_barrier
	s_and_saveexec_b64 s[16:17], s[4:5]
	s_cbranch_execz .LBB0_17
; %bb.16:
	ds_read_b128 v[88:91], v168
	ds_read_b128 v[92:95], v168 offset:2304
	ds_read_b128 v[96:99], v168 offset:4608
	;; [unrolled: 1-line block ×10, first 2 shown]
.LBB0_17:
	s_or_b64 exec, exec, s[16:17]
	v_and_b32_e32 v174, 15, v172
	s_movk_i32 s16, 0xa0
	v_mov_b64_e32 v[44:45], s[0:1]
	v_mad_u64_u32 v[60:61], s[16:17], v174, s16, v[44:45]
	global_load_dwordx4 v[44:47], v[60:61], off offset:192
	global_load_dwordx4 v[48:51], v[60:61], off offset:208
	;; [unrolled: 1-line block ×9, first 2 shown]
	s_nop 0
	global_load_dwordx4 v[60:63], v[60:61], off offset:336
	s_mov_b32 s20, 0xf8bb580b
	s_mov_b32 s16, 0x8764f0ba
	;; [unrolled: 1-line block ×26, first 2 shown]
	v_lshrrev_b32_e32 v0, 4, v172
	v_accvgpr_write_b32 a44, v6
	v_accvgpr_write_b32 a40, v0
	s_waitcnt lgkmcnt(0)
	s_barrier
	s_waitcnt vmcnt(9)
	v_mul_f64 v[128:129], v[94:95], v[46:47]
	v_mul_f64 v[134:135], v[92:93], v[46:47]
	s_waitcnt vmcnt(8)
	v_mul_f64 v[130:131], v[98:99], v[50:51]
	v_mul_f64 v[136:137], v[96:97], v[50:51]
	s_waitcnt vmcnt(5)
	v_mul_f64 v[142:143], v[108:109], v[82:83]
	v_mul_f64 v[154:155], v[102:103], v[54:55]
	v_mul_f64 v[156:157], v[106:107], v[58:59]
	v_mul_f64 v[158:159], v[110:111], v[82:83]
	s_waitcnt vmcnt(3)
	v_mul_f64 v[162:163], v[118:119], v[74:75]
	s_waitcnt vmcnt(0)
	v_mul_f64 v[176:177], v[86:87], v[62:63]
	v_mul_f64 v[166:167], v[126:127], v[70:71]
	;; [unrolled: 1-line block ×3, first 2 shown]
	v_fma_f64 v[92:93], v[92:93], v[44:45], -v[128:129]
	v_fmac_f64_e32 v[142:143], v[110:111], v[80:81]
	v_fma_f64 v[110:111], v[84:85], v[60:61], -v[176:177]
	v_mul_f64 v[138:139], v[100:101], v[54:55]
	v_mul_f64 v[140:141], v[104:105], v[58:59]
	;; [unrolled: 1-line block ×4, first 2 shown]
	v_fmac_f64_e32 v[134:135], v[94:95], v[44:45]
	v_fma_f64 v[94:95], v[96:97], v[48:49], -v[130:131]
	v_fmac_f64_e32 v[136:137], v[98:99], v[48:49]
	v_fma_f64 v[96:97], v[100:101], v[52:53], -v[154:155]
	v_fma_f64 v[98:99], v[104:105], v[56:57], -v[156:157]
	;; [unrolled: 1-line block ×5, first 2 shown]
	v_fmac_f64_e32 v[152:153], v[86:87], v[60:61]
	v_add_f64 v[162:163], v[92:93], -v[110:111]
	v_mul_f64 v[160:161], v[114:115], v[78:79]
	v_mul_f64 v[164:165], v[122:123], v[66:67]
	;; [unrolled: 1-line block ×3, first 2 shown]
	v_fmac_f64_e32 v[146:147], v[118:119], v[72:73]
	v_fmac_f64_e32 v[150:151], v[126:127], v[68:69]
	v_add_f64 v[186:187], v[134:135], v[152:153]
	v_add_f64 v[176:177], v[134:135], -v[152:153]
	v_add_f64 v[166:167], v[94:95], -v[108:109]
	v_mul_f64 v[118:119], v[162:163], s[20:21]
	v_mul_f64 v[144:145], v[112:113], v[78:79]
	v_fmac_f64_e32 v[138:139], v[102:103], v[52:53]
	v_fmac_f64_e32 v[140:141], v[106:107], v[56:57]
	v_fma_f64 v[102:103], v[112:113], v[76:77], -v[160:161]
	v_fma_f64 v[106:107], v[120:121], v[64:65], -v[164:165]
	v_fmac_f64_e32 v[148:149], v[122:123], v[64:65]
	v_add_f64 v[154:155], v[92:93], v[110:111]
	v_add_f64 v[190:191], v[136:137], v[150:151]
	v_add_f64 v[180:181], v[136:137], -v[150:151]
	v_mul_f64 v[112:113], v[176:177], s[20:21]
	v_mul_f64 v[120:121], v[166:167], s[24:25]
	v_fma_f64 v[86:87], v[186:187], s[16:17], -v[118:119]
	v_fmac_f64_e32 v[144:145], v[114:115], v[76:77]
	v_add_f64 v[158:159], v[94:95], v[108:109]
	v_add_f64 v[182:183], v[138:139], -v[148:149]
	v_mul_f64 v[114:115], v[180:181], s[24:25]
	v_fma_f64 v[84:85], s[16:17], v[154:155], v[112:113]
	v_fma_f64 v[122:123], v[190:191], s[18:19], -v[120:121]
	v_add_f64 v[86:87], v[90:91], v[86:87]
	v_add_f64 v[160:161], v[96:97], v[106:107]
	v_fma_f64 v[116:117], s[18:19], v[158:159], v[114:115]
	v_add_f64 v[84:85], v[88:89], v[84:85]
	v_add_f64 v[86:87], v[122:123], v[86:87]
	v_mul_f64 v[122:123], v[182:183], s[26:27]
	v_add_f64 v[188:189], v[96:97], -v[106:107]
	v_add_f64 v[84:85], v[116:117], v[84:85]
	v_fma_f64 v[116:117], s[22:23], v[160:161], v[122:123]
	v_add_f64 v[202:203], v[138:139], v[148:149]
	v_mul_f64 v[156:157], v[188:189], s[26:27]
	v_add_f64 v[210:211], v[140:141], -v[146:147]
	v_add_f64 v[84:85], v[116:117], v[84:85]
	v_fma_f64 v[116:117], v[202:203], s[22:23], -v[156:157]
	v_add_f64 v[192:193], v[98:99], v[104:105]
	v_mul_f64 v[164:165], v[210:211], s[34:35]
	v_add_f64 v[200:201], v[98:99], -v[104:105]
	v_add_f64 v[86:87], v[116:117], v[86:87]
	v_fma_f64 v[116:117], s[30:31], v[192:193], v[164:165]
	v_add_f64 v[224:225], v[140:141], v[146:147]
	v_mul_f64 v[178:179], v[200:201], s[34:35]
	v_add_f64 v[228:229], v[142:143], -v[144:145]
	v_add_f64 v[84:85], v[116:117], v[84:85]
	v_fma_f64 v[116:117], v[224:225], s[30:31], -v[178:179]
	v_add_f64 v[206:207], v[100:101], v[102:103]
	v_mul_f64 v[184:185], v[228:229], s[40:41]
	v_add_f64 v[222:223], v[100:101], -v[102:103]
	v_add_f64 v[86:87], v[116:117], v[86:87]
	v_fma_f64 v[116:117], s[36:37], v[206:207], v[184:185]
	v_add_f64 v[230:231], v[142:143], v[144:145]
	v_mul_f64 v[194:195], v[222:223], s[40:41]
	v_add_f64 v[124:125], v[116:117], v[84:85]
	v_fma_f64 v[84:85], v[230:231], s[36:37], -v[194:195]
	v_mul_f64 v[196:197], v[176:177], s[24:25]
	v_add_f64 v[126:127], v[84:85], v[86:87]
	v_fma_f64 v[84:85], s[18:19], v[154:155], v[196:197]
	v_mul_f64 v[198:199], v[180:181], s[34:35]
	v_add_f64 v[84:85], v[88:89], v[84:85]
	v_fma_f64 v[86:87], s[30:31], v[158:159], v[198:199]
	v_mul_f64 v[208:209], v[162:163], s[24:25]
	v_add_f64 v[84:85], v[86:87], v[84:85]
	v_fma_f64 v[86:87], v[186:187], s[18:19], -v[208:209]
	v_mul_f64 v[212:213], v[166:167], s[34:35]
	v_add_f64 v[86:87], v[90:91], v[86:87]
	v_fma_f64 v[116:117], v[190:191], s[30:31], -v[212:213]
	v_mul_f64 v[204:205], v[182:183], s[38:39]
	v_add_f64 v[86:87], v[116:117], v[86:87]
	v_fma_f64 v[116:117], s[36:37], v[160:161], v[204:205]
	v_mul_f64 v[216:217], v[188:189], s[38:39]
	v_add_f64 v[84:85], v[116:117], v[84:85]
	v_fma_f64 v[116:117], v[202:203], s[36:37], -v[216:217]
	v_mul_f64 v[214:215], v[210:211], s[42:43]
	v_add_f64 v[86:87], v[116:117], v[86:87]
	v_fma_f64 v[116:117], s[22:23], v[192:193], v[214:215]
	;; [unrolled: 6-line block ×3, first 2 shown]
	v_mul_f64 v[226:227], v[222:223], s[44:45]
	v_add_f64 v[128:129], v[116:117], v[84:85]
	v_fma_f64 v[84:85], v[230:231], s[16:17], -v[226:227]
	v_add_f64 v[130:131], v[84:85], v[86:87]
	v_mov_b32_e32 v117, 0
	s_and_saveexec_b64 s[28:29], s[4:5]
	s_cbranch_execz .LBB0_19
; %bb.18:
	v_mul_f64 v[0:1], v[154:155], s[16:17]
	v_accvgpr_write_b32 a47, v1
	v_accvgpr_write_b32 a46, v0
	v_mul_f64 v[0:1], v[186:187], s[16:17]
	v_accvgpr_write_b32 a53, v1
	v_accvgpr_write_b32 a52, v0
	;; [unrolled: 3-line block ×8, first 2 shown]
	v_mul_f64 v[0:1], v[224:225], s[30:31]
	v_accvgpr_write_b32 a16, v248
	v_mul_f64 v[28:29], v[186:187], s[36:37]
	v_accvgpr_write_b32 a65, v1
	v_accvgpr_write_b32 a12, v244
	v_accvgpr_write_b32 a17, v249
	v_accvgpr_write_b32 a18, v250
	v_accvgpr_write_b32 a19, v251
	v_mul_f64 v[250:251], v[190:191], s[16:17]
	v_accvgpr_write_b32 a20, v252
	v_fma_f64 v[30:31], s[38:39], v[162:163], v[28:29]
	v_accvgpr_write_b32 a8, v240
	v_accvgpr_write_b32 a64, v0
	v_mul_f64 v[0:1], v[206:207], s[36:37]
	v_accvgpr_write_b32 a4, v236
	v_accvgpr_write_b32 a13, v245
	;; [unrolled: 1-line block ×4, first 2 shown]
	v_mul_f64 v[246:247], v[202:203], s[30:31]
	s_mov_b32 s49, 0x3fe82f19
	s_mov_b32 s48, s34
	v_accvgpr_write_b32 a21, v253
	v_accvgpr_write_b32 a22, v254
	;; [unrolled: 1-line block ×3, first 2 shown]
	v_fma_f64 v[252:253], s[20:21], v[166:167], v[250:251]
	v_add_f64 v[30:31], v[90:91], v[30:31]
	v_accvgpr_write_b32 a9, v241
	v_accvgpr_write_b32 a10, v242
	;; [unrolled: 1-line block ×3, first 2 shown]
	v_mul_f64 v[240:241], v[176:177], s[40:41]
	v_accvgpr_write_b32 a0, v232
	v_accvgpr_write_b32 a59, v1
	;; [unrolled: 1-line block ×5, first 2 shown]
	v_mul_f64 v[238:239], v[224:225], s[18:19]
	v_fma_f64 v[248:249], s[48:49], v[188:189], v[246:247]
	v_add_f64 v[30:31], v[252:253], v[30:31]
	v_mul_f64 v[254:255], v[180:181], s[44:45]
	v_fma_f64 v[12:13], s[36:37], v[154:155], v[240:241]
	v_accvgpr_write_b32 a1, v233
	v_accvgpr_write_b32 a2, v234
	;; [unrolled: 1-line block ×4, first 2 shown]
	v_mul_f64 v[236:237], v[230:231], s[22:23]
	v_fma_f64 v[86:87], s[24:25], v[200:201], v[238:239]
	v_add_f64 v[30:31], v[248:249], v[30:31]
	s_mov_b32 s47, 0x3fed1bb4
	s_mov_b32 s46, s24
	v_mul_f64 v[0:1], v[182:183], s[34:35]
	v_fma_f64 v[234:235], s[16:17], v[158:159], v[254:255]
	v_add_f64 v[12:13], v[88:89], v[12:13]
	v_fma_f64 v[84:85], s[42:43], v[222:223], v[236:237]
	v_add_f64 v[30:31], v[86:87], v[30:31]
	v_mul_f64 v[252:253], v[210:211], s[46:47]
	v_mov_b32_e32 v116, v174
	v_accvgpr_write_b32 a32, v175
	v_fma_f64 v[174:175], s[30:31], v[160:161], v[0:1]
	v_add_f64 v[12:13], v[234:235], v[12:13]
	v_add_f64 v[86:87], v[84:85], v[30:31]
	v_mul_f64 v[30:31], v[228:229], s[26:27]
	v_fma_f64 v[248:249], s[18:19], v[192:193], v[252:253]
	v_add_f64 v[12:13], v[174:175], v[12:13]
	v_fma_f64 v[84:85], s[22:23], v[206:207], v[30:31]
	v_add_f64 v[12:13], v[248:249], v[12:13]
	v_fmac_f64_e32 v[28:29], s[40:41], v[162:163]
	v_add_f64 v[84:85], v[84:85], v[12:13]
	v_fmac_f64_e32 v[250:251], s[44:45], v[166:167]
	;; [unrolled: 2-line block ×5, first 2 shown]
	v_add_f64 v[12:13], v[238:239], v[12:13]
	v_fma_f64 v[174:175], v[154:155], s[36:37], -v[240:241]
	v_add_f64 v[248:249], v[236:237], v[12:13]
	v_fma_f64 v[12:13], v[206:207], s[22:23], -v[30:31]
	v_fma_f64 v[30:31], v[158:159], s[16:17], -v[254:255]
	v_add_f64 v[174:175], v[88:89], v[174:175]
	v_mul_f64 v[240:241], v[186:187], s[30:31]
	v_fma_f64 v[0:1], v[160:161], s[30:31], -v[0:1]
	v_add_f64 v[30:31], v[30:31], v[174:175]
	v_mul_f64 v[236:237], v[190:191], s[22:23]
	v_fma_f64 v[250:251], s[48:49], v[162:163], v[240:241]
	v_fma_f64 v[28:29], v[192:193], s[18:19], -v[252:253]
	v_add_f64 v[0:1], v[0:1], v[30:31]
	v_mul_f64 v[174:175], v[202:203], s[16:17]
	v_fma_f64 v[238:239], s[26:27], v[166:167], v[236:237]
	v_add_f64 v[250:251], v[90:91], v[250:251]
	v_mul_f64 v[14:15], v[176:177], s[34:35]
	v_add_f64 v[0:1], v[28:29], v[0:1]
	v_mul_f64 v[28:29], v[224:225], s[36:37]
	v_fma_f64 v[234:235], s[44:45], v[188:189], v[174:175]
	v_add_f64 v[238:239], v[238:239], v[250:251]
	v_mul_f64 v[244:245], v[180:181], s[42:43]
	v_fma_f64 v[20:21], s[30:31], v[154:155], v[14:15]
	;; [unrolled: 3-line block ×4, first 2 shown]
	v_add_f64 v[20:21], v[88:89], v[20:21]
	v_fma_f64 v[12:13], s[24:25], v[222:223], v[0:1]
	v_add_f64 v[30:31], v[30:31], v[234:235]
	v_mul_f64 v[234:235], v[210:211], s[40:41]
	v_fma_f64 v[250:251], s[16:17], v[160:161], v[254:255]
	v_add_f64 v[20:21], v[242:243], v[20:21]
	v_add_f64 v[252:253], v[12:13], v[30:31]
	v_mul_f64 v[12:13], v[228:229], s[46:47]
	v_fma_f64 v[238:239], s[36:37], v[192:193], v[234:235]
	v_add_f64 v[20:21], v[250:251], v[20:21]
	v_fma_f64 v[30:31], s[18:19], v[206:207], v[12:13]
	v_add_f64 v[20:21], v[238:239], v[20:21]
	v_fmac_f64_e32 v[240:241], s[34:35], v[162:163]
	v_add_f64 v[250:251], v[30:31], v[20:21]
	v_fmac_f64_e32 v[236:237], s[42:43], v[166:167]
	;; [unrolled: 2-line block ×4, first 2 shown]
	v_add_f64 v[20:21], v[174:175], v[20:21]
	v_fma_f64 v[14:15], v[154:155], s[30:31], -v[14:15]
	v_mul_f64 v[232:233], v[186:187], s[18:19]
	v_fmac_f64_e32 v[0:1], s[46:47], v[222:223]
	v_add_f64 v[20:21], v[28:29], v[20:21]
	v_fma_f64 v[28:29], v[158:159], s[22:23], -v[244:245]
	v_add_f64 v[14:15], v[88:89], v[14:15]
	v_mul_f64 v[186:187], v[186:187], s[22:23]
	v_mul_f64 v[10:11], v[202:203], s[36:37]
	v_add_f64 v[238:239], v[0:1], v[20:21]
	v_fma_f64 v[20:21], v[160:161], s[16:17], -v[254:255]
	v_add_f64 v[14:15], v[28:29], v[14:15]
	v_mul_f64 v[28:29], v[202:203], s[18:19]
	v_mul_f64 v[174:175], v[190:191], s[36:37]
	v_fma_f64 v[202:203], s[42:43], v[162:163], v[186:187]
	v_mul_f64 v[2:3], v[190:191], s[30:31]
	v_fma_f64 v[0:1], v[206:207], s[18:19], -v[12:13]
	v_fma_f64 v[12:13], v[192:193], s[36:37], -v[234:235]
	v_add_f64 v[14:15], v[20:21], v[14:15]
	v_fma_f64 v[190:191], s[40:41], v[166:167], v[174:175]
	v_add_f64 v[202:203], v[90:91], v[202:203]
	v_add_f64 v[12:13], v[12:13], v[14:15]
	v_mul_f64 v[14:15], v[224:225], s[16:17]
	v_fma_f64 v[30:31], s[24:25], v[188:189], v[28:29]
	v_add_f64 v[190:191], v[190:191], v[202:203]
	v_mul_f64 v[176:177], v[176:177], s[26:27]
	v_mul_f64 v[18:19], v[224:225], s[22:23]
	v_fma_f64 v[20:21], s[44:45], v[200:201], v[14:15]
	v_add_f64 v[30:31], v[30:31], v[190:191]
	v_mul_f64 v[180:181], v[180:181], s[38:39]
	v_fma_f64 v[224:225], s[22:23], v[154:155], v[176:177]
	v_add_f64 v[236:237], v[0:1], v[12:13]
	v_mul_f64 v[0:1], v[230:231], s[30:31]
	v_add_f64 v[20:21], v[20:21], v[30:31]
	v_mul_f64 v[30:31], v[210:211], s[20:21]
	v_mul_f64 v[182:183], v[182:183], s[46:47]
	v_fma_f64 v[210:211], s[36:37], v[158:159], v[180:181]
	v_add_f64 v[224:225], v[88:89], v[224:225]
	v_fma_f64 v[12:13], s[48:49], v[222:223], v[0:1]
	v_fma_f64 v[202:203], s[18:19], v[160:161], v[182:183]
	v_add_f64 v[210:211], v[210:211], v[224:225]
	v_mul_f64 v[4:5], v[230:231], s[36:37]
	v_mul_f64 v[26:27], v[230:231], s[16:17]
	v_add_f64 v[230:231], v[12:13], v[20:21]
	v_mul_f64 v[12:13], v[228:229], s[34:35]
	v_fma_f64 v[190:191], s[16:17], v[192:193], v[30:31]
	v_add_f64 v[202:203], v[202:203], v[210:211]
	v_fma_f64 v[20:21], s[30:31], v[206:207], v[12:13]
	v_add_f64 v[190:191], v[190:191], v[202:203]
	v_fmac_f64_e32 v[186:187], s[26:27], v[162:163]
	v_add_f64 v[228:229], v[20:21], v[190:191]
	v_fmac_f64_e32 v[174:175], s[38:39], v[166:167]
	v_add_f64 v[20:21], v[90:91], v[186:187]
	v_fmac_f64_e32 v[28:29], s[46:47], v[188:189]
	v_add_f64 v[20:21], v[174:175], v[20:21]
	v_fmac_f64_e32 v[14:15], s[20:21], v[200:201]
	v_add_f64 v[20:21], v[28:29], v[20:21]
	v_fma_f64 v[28:29], v[154:155], s[22:23], -v[176:177]
	v_fmac_f64_e32 v[0:1], s[34:35], v[222:223]
	v_add_f64 v[14:15], v[14:15], v[20:21]
	v_fma_f64 v[20:21], v[158:159], s[36:37], -v[180:181]
	v_add_f64 v[28:29], v[88:89], v[28:29]
	v_add_f64 v[162:163], v[0:1], v[14:15]
	v_fma_f64 v[14:15], v[160:161], s[18:19], -v[182:183]
	v_add_f64 v[20:21], v[20:21], v[28:29]
	v_fma_f64 v[0:1], v[206:207], s[30:31], -v[12:13]
	v_fma_f64 v[12:13], v[192:193], s[16:17], -v[30:31]
	v_add_f64 v[14:15], v[14:15], v[20:21]
	v_add_f64 v[12:13], v[12:13], v[14:15]
	;; [unrolled: 1-line block ×8, first 2 shown]
	v_accvgpr_read_b32 v10, a62
	v_accvgpr_read_b32 v11, a63
	v_mul_f64 v[6:7], v[158:159], s[30:31]
	v_add_f64 v[10:11], v[10:11], -v[196:197]
	v_mul_f64 v[8:9], v[160:161], s[36:37]
	v_add_f64 v[160:161], v[0:1], v[12:13]
	v_add_f64 v[12:13], v[220:221], v[18:19]
	v_add_f64 v[6:7], v[6:7], -v[198:199]
	v_add_f64 v[10:11], v[88:89], v[10:11]
	v_mul_f64 v[16:17], v[192:193], s[22:23]
	v_add_f64 v[0:1], v[226:227], v[26:27]
	v_add_f64 v[2:3], v[12:13], v[2:3]
	v_add_f64 v[8:9], v[8:9], -v[204:205]
	v_add_f64 v[6:7], v[6:7], v[10:11]
	v_mul_f64 v[24:25], v[206:207], s[16:17]
	v_add_f64 v[182:183], v[0:1], v[2:3]
	v_add_f64 v[2:3], v[16:17], -v[214:215]
	v_add_f64 v[6:7], v[8:9], v[6:7]
	v_accvgpr_read_b32 v8, a52
	v_add_f64 v[0:1], v[24:25], -v[218:219]
	v_add_f64 v[2:3], v[2:3], v[6:7]
	v_accvgpr_read_b32 v6, a56
	v_accvgpr_read_b32 v9, a53
	v_add_f64 v[180:181], v[0:1], v[2:3]
	v_add_f64 v[0:1], v[194:195], v[4:5]
	v_accvgpr_read_b32 v4, a60
	v_accvgpr_read_b32 v7, a57
	v_add_f64 v[8:9], v[118:119], v[8:9]
	v_accvgpr_read_b32 v2, a64
	v_accvgpr_read_b32 v5, a61
	v_add_f64 v[6:7], v[120:121], v[6:7]
	v_add_f64 v[8:9], v[90:91], v[8:9]
	v_accvgpr_read_b32 v3, a65
	v_add_f64 v[4:5], v[156:157], v[4:5]
	v_add_f64 v[6:7], v[6:7], v[8:9]
	;; [unrolled: 3-line block ×3, first 2 shown]
	v_accvgpr_read_b32 v6, a48
	v_accvgpr_read_b32 v9, a47
	v_add_f64 v[2:3], v[2:3], v[4:5]
	v_accvgpr_read_b32 v4, a50
	v_accvgpr_read_b32 v7, a49
	v_add_f64 v[8:9], v[8:9], -v[112:113]
	v_add_f64 v[120:121], v[0:1], v[2:3]
	v_accvgpr_read_b32 v2, a54
	v_accvgpr_read_b32 v5, a51
	v_add_f64 v[6:7], v[6:7], -v[114:115]
	;; [unrolled: 4-line block ×3, first 2 shown]
	v_add_f64 v[6:7], v[6:7], v[8:9]
	v_accvgpr_read_b32 v1, a59
	v_add_f64 v[2:3], v[2:3], -v[164:165]
	v_add_f64 v[4:5], v[4:5], v[6:7]
	v_add_f64 v[0:1], v[0:1], -v[184:185]
	v_add_f64 v[2:3], v[2:3], v[4:5]
	v_add_f64 v[118:119], v[0:1], v[2:3]
	;; [unrolled: 1-line block ×22, first 2 shown]
	v_accvgpr_read_b32 v0, a40
	v_mov_b32_e32 v174, v116
	v_mul_u32_u24_e32 v0, 0xb0, v0
	v_or_b32_e32 v0, v0, v174
	v_lshlrev_b32_e32 v0, 4, v0
	v_accvgpr_read_b32 v243, a11
	v_accvgpr_read_b32 v235, a3
	ds_write_b128 v0, v[88:91]
	ds_write_b128 v0, v[118:121] offset:256
	ds_write_b128 v0, v[180:183] offset:512
	ds_write_b128 v0, v[160:163] offset:768
	ds_write_b128 v0, v[236:239] offset:1024
	v_accvgpr_read_b32 v239, a7
	ds_write_b128 v0, v[246:249] offset:1280
	v_accvgpr_read_b32 v247, a15
	ds_write_b128 v0, v[84:87] offset:1536
	ds_write_b128 v0, v[250:253] offset:1792
	v_accvgpr_read_b32 v255, a23
	v_accvgpr_read_b32 v251, a19
	;; [unrolled: 1-line block ×21, first 2 shown]
	ds_write_b128 v0, v[228:231] offset:2048
	ds_write_b128 v0, v[128:131] offset:2304
	;; [unrolled: 1-line block ×3, first 2 shown]
.LBB0_19:
	s_or_b64 exec, exec, s[28:29]
	v_lshlrev_b32_e32 v116, 4, v172
	v_lshl_add_u64 v[140:141], s[14:15], 0, v[116:117]
	s_mov_b32 s14, 0xba2f
	v_mul_u32_u24_sdwa v0, v132, s14 dst_sel:DWORD dst_unused:UNUSED_PAD src0_sel:WORD_0 src1_sel:DWORD
	v_lshrrev_b32_e32 v0, 23, v0
	v_lshlrev_b32_e32 v116, 4, v133
	v_mul_lo_u16_e32 v0, 0xb0, v0
	s_waitcnt lgkmcnt(0)
	s_barrier
	global_load_dwordx4 v[88:91], v116, s[0:1] offset:2752
	global_load_dwordx4 v[84:87], v116, s[0:1] offset:2768
	v_sub_u16_e32 v122, v132, v0
	v_lshl_add_u64 v[100:101], s[0:1], 0, v[116:117]
	v_lshlrev_b16_e32 v116, 5, v122
	v_lshl_add_u64 v[0:1], s[0:1], 0, v[116:117]
	global_load_dwordx4 v[96:99], v[0:1], off offset:2752
	global_load_dwordx4 v[92:95], v[0:1], off offset:2768
	ds_read_b128 v[102:105], v168
	ds_read_b128 v[106:109], v168 offset:2816
	ds_read_b128 v[110:113], v168 offset:16896
	;; [unrolled: 1-line block ×8, first 2 shown]
	s_mov_b32 s14, 0xe8584caa
	s_mov_b32 s15, 0x3febb67a
	;; [unrolled: 1-line block ×4, first 2 shown]
	s_movk_i32 s18, 0x2000
	s_mov_b64 s[20:21], 0x20c0
	v_lshlrev_b32_e32 v180, 4, v122
	s_waitcnt lgkmcnt(0)
	s_barrier
	s_waitcnt vmcnt(3)
	v_mul_f64 v[2:3], v[134:135], v[90:91]
	s_waitcnt vmcnt(2)
	v_mul_f64 v[6:7], v[110:111], v[86:87]
	v_mul_f64 v[0:1], v[136:137], v[90:91]
	;; [unrolled: 1-line block ×3, first 2 shown]
	v_fmac_f64_e32 v[2:3], v[136:137], v[88:89]
	v_fmac_f64_e32 v[6:7], v[112:113], v[84:85]
	v_mul_f64 v[8:9], v[148:149], v[90:91]
	v_mul_f64 v[10:11], v[146:147], v[90:91]
	;; [unrolled: 1-line block ×3, first 2 shown]
	v_fma_f64 v[0:1], v[134:135], v[88:89], -v[0:1]
	v_fma_f64 v[4:5], v[110:111], v[84:85], -v[4:5]
	v_add_f64 v[20:21], v[2:3], -v[6:7]
	v_add_f64 v[24:25], v[104:105], v[2:3]
	v_add_f64 v[2:3], v[2:3], v[6:7]
	v_mul_f64 v[12:13], v[120:121], v[86:87]
	v_fma_f64 v[8:9], v[146:147], v[88:89], -v[8:9]
	v_fmac_f64_e32 v[10:11], v[148:149], v[88:89]
	v_fmac_f64_e32 v[14:15], v[120:121], v[84:85]
	v_add_f64 v[16:17], v[102:103], v[0:1]
	v_add_f64 v[18:19], v[0:1], v[4:5]
	v_add_f64 v[0:1], v[0:1], -v[4:5]
	v_add_f64 v[112:113], v[24:25], v[6:7]
	v_fmac_f64_e32 v[104:105], -0.5, v[2:3]
	s_waitcnt vmcnt(1)
	v_mul_f64 v[2:3], v[150:151], v[98:99]
	s_waitcnt vmcnt(0)
	v_mul_f64 v[6:7], v[154:155], v[94:95]
	v_fma_f64 v[12:13], v[118:119], v[84:85], -v[12:13]
	v_add_f64 v[26:27], v[106:107], v[8:9]
	v_add_f64 v[30:31], v[10:11], -v[14:15]
	v_add_f64 v[114:115], v[108:109], v[10:11]
	v_add_f64 v[10:11], v[10:11], v[14:15]
	;; [unrolled: 1-line block ×3, first 2 shown]
	v_fma_f64 v[136:137], s[16:17], v[0:1], v[104:105]
	v_fmac_f64_e32 v[104:105], s[14:15], v[0:1]
	v_mul_f64 v[0:1], v[152:153], v[98:99]
	v_mul_f64 v[4:5], v[156:157], v[94:95]
	v_fmac_f64_e32 v[2:3], v[152:153], v[96:97]
	v_fmac_f64_e32 v[6:7], v[156:157], v[92:93]
	v_add_f64 v[28:29], v[8:9], v[12:13]
	v_add_f64 v[8:9], v[8:9], -v[12:13]
	v_add_f64 v[118:119], v[26:27], v[12:13]
	v_add_f64 v[120:121], v[114:115], v[14:15]
	v_fmac_f64_e32 v[108:109], -0.5, v[10:11]
	v_fma_f64 v[0:1], v[150:151], v[96:97], -v[0:1]
	v_fma_f64 v[4:5], v[154:155], v[92:93], -v[4:5]
	v_add_f64 v[12:13], v[2:3], -v[6:7]
	v_add_f64 v[14:15], v[144:145], v[2:3]
	v_add_f64 v[2:3], v[2:3], v[6:7]
	v_fmac_f64_e32 v[102:103], -0.5, v[18:19]
	v_fmac_f64_e32 v[106:107], -0.5, v[28:29]
	v_fma_f64 v[148:149], s[16:17], v[8:9], v[108:109]
	v_fmac_f64_e32 v[108:109], s[14:15], v[8:9]
	v_add_f64 v[8:9], v[142:143], v[0:1]
	v_add_f64 v[10:11], v[0:1], v[4:5]
	v_fmac_f64_e32 v[144:145], -0.5, v[2:3]
	v_add_f64 v[0:1], v[0:1], -v[4:5]
	v_add_co_u32_e32 v2, vcc, s18, v100
	v_fma_f64 v[134:135], s[14:15], v[20:21], v[102:103]
	v_fmac_f64_e32 v[102:103], s[16:17], v[20:21]
	v_fma_f64 v[146:147], s[14:15], v[30:31], v[106:107]
	v_fmac_f64_e32 v[106:107], s[16:17], v[30:31]
	v_add_f64 v[150:151], v[8:9], v[4:5]
	v_fmac_f64_e32 v[142:143], -0.5, v[10:11]
	v_add_f64 v[152:153], v[14:15], v[6:7]
	v_fma_f64 v[156:157], s[16:17], v[0:1], v[144:145]
	v_fmac_f64_e32 v[144:145], s[14:15], v[0:1]
	v_lshl_add_u64 v[0:1], v[100:101], 0, s[20:21]
	v_addc_co_u32_e32 v3, vcc, 0, v101, vcc
	v_fma_f64 v[154:155], s[14:15], v[12:13], v[142:143]
	v_fmac_f64_e32 v[142:143], s[16:17], v[12:13]
	ds_write_b128 v168, v[110:113]
	ds_write_b128 v168, v[134:137] offset:2816
	ds_write_b128 v168, v[102:105] offset:5632
	;; [unrolled: 1-line block ×8, first 2 shown]
	s_waitcnt lgkmcnt(0)
	s_barrier
	global_load_dwordx4 v[100:103], v[2:3], off offset:192
	global_load_dwordx4 v[104:107], v[0:1], off offset:16
	v_accvgpr_read_b32 v0, a44
	v_lshlrev_b32_e32 v116, 4, v0
	v_lshl_add_u64 v[0:1], s[0:1], 0, v[116:117]
	v_lshl_add_u64 v[2:3], v[0:1], 0, s[20:21]
	v_add_co_u32_e32 v0, vcc, s18, v0
	v_lshlrev_b32_e32 v116, 5, v132
	s_nop 0
	v_addc_co_u32_e32 v1, vcc, 0, v1, vcc
	global_load_dwordx4 v[108:111], v[0:1], off offset:192
	global_load_dwordx4 v[112:115], v[2:3], off offset:16
	v_lshl_add_u64 v[0:1], s[0:1], 0, v[116:117]
	v_add_co_u32_e32 v2, vcc, s18, v0
	s_movk_i32 s0, 0x7000
	s_nop 0
	v_addc_co_u32_e32 v3, vcc, 0, v1, vcc
	global_load_dwordx4 v[116:119], v[2:3], off offset:192
	v_lshl_add_u64 v[0:1], v[0:1], 0, s[20:21]
	global_load_dwordx4 v[120:123], v[0:1], off offset:16
	ds_read_b128 v[136:139], v168
	ds_read_b128 v[142:145], v168 offset:2816
	ds_read_b128 v[146:149], v168 offset:16896
	;; [unrolled: 1-line block ×8, first 2 shown]
	s_waitcnt vmcnt(5) lgkmcnt(4)
	v_mul_f64 v[0:1], v[156:157], v[102:103]
	s_waitcnt vmcnt(4)
	v_mul_f64 v[4:5], v[148:149], v[106:107]
	v_fma_f64 v[0:1], v[154:155], v[100:101], -v[0:1]
	v_mul_f64 v[2:3], v[154:155], v[102:103]
	v_mul_f64 v[6:7], v[146:147], v[106:107]
	v_fma_f64 v[4:5], v[146:147], v[104:105], -v[4:5]
	v_add_f64 v[26:27], v[136:137], v[0:1]
	v_fmac_f64_e32 v[2:3], v[156:157], v[100:101]
	v_fmac_f64_e32 v[6:7], v[148:149], v[104:105]
	v_add_f64 v[146:147], v[26:27], v[4:5]
	v_add_f64 v[26:27], v[0:1], v[4:5]
	s_waitcnt vmcnt(2)
	v_mul_f64 v[12:13], v[152:153], v[114:115]
	v_fmac_f64_e32 v[136:137], -0.5, v[26:27]
	v_add_f64 v[26:27], v[2:3], -v[6:7]
	s_waitcnt lgkmcnt(2)
	v_mul_f64 v[8:9], v[160:161], v[110:111]
	v_mul_f64 v[14:15], v[150:151], v[114:115]
	v_fma_f64 v[12:13], v[150:151], v[112:113], -v[12:13]
	v_fma_f64 v[150:151], s[14:15], v[26:27], v[136:137]
	v_fmac_f64_e32 v[136:137], s[16:17], v[26:27]
	v_add_f64 v[26:27], v[138:139], v[2:3]
	v_add_f64 v[2:3], v[2:3], v[6:7]
	v_fma_f64 v[8:9], v[158:159], v[108:109], -v[8:9]
	v_fmac_f64_e32 v[138:139], -0.5, v[2:3]
	v_add_f64 v[0:1], v[0:1], -v[4:5]
	v_mul_f64 v[10:11], v[158:159], v[110:111]
	v_fmac_f64_e32 v[14:15], v[152:153], v[112:113]
	v_fma_f64 v[152:153], s[16:17], v[0:1], v[138:139]
	v_fmac_f64_e32 v[138:139], s[14:15], v[0:1]
	v_add_f64 v[0:1], v[142:143], v[8:9]
	v_fmac_f64_e32 v[10:11], v[160:161], v[108:109]
	v_add_f64 v[154:155], v[0:1], v[12:13]
	v_add_f64 v[0:1], v[8:9], v[12:13]
	v_fmac_f64_e32 v[142:143], -0.5, v[0:1]
	v_add_f64 v[0:1], v[10:11], -v[14:15]
	v_fma_f64 v[158:159], s[14:15], v[0:1], v[142:143]
	v_fmac_f64_e32 v[142:143], s[16:17], v[0:1]
	v_add_f64 v[0:1], v[144:145], v[10:11]
	s_waitcnt vmcnt(1) lgkmcnt(1)
	v_mul_f64 v[16:17], v[164:165], v[118:119]
	v_add_f64 v[156:157], v[0:1], v[14:15]
	v_add_f64 v[0:1], v[10:11], v[14:15]
	s_waitcnt vmcnt(0) lgkmcnt(0)
	v_mul_f64 v[20:21], v[178:179], v[122:123]
	v_fma_f64 v[16:17], v[162:163], v[116:117], -v[16:17]
	v_fmac_f64_e32 v[144:145], -0.5, v[0:1]
	v_add_f64 v[0:1], v[8:9], -v[12:13]
	v_mul_f64 v[18:19], v[162:163], v[118:119]
	v_mul_f64 v[24:25], v[176:177], v[122:123]
	v_fma_f64 v[20:21], v[176:177], v[120:121], -v[20:21]
	v_fma_f64 v[160:161], s[16:17], v[0:1], v[144:145]
	v_fmac_f64_e32 v[144:145], s[14:15], v[0:1]
	v_add_f64 v[0:1], v[132:133], v[16:17]
	v_fmac_f64_e32 v[18:19], v[164:165], v[116:117]
	v_fmac_f64_e32 v[24:25], v[178:179], v[120:121]
	v_add_f64 v[162:163], v[0:1], v[20:21]
	v_add_f64 v[0:1], v[16:17], v[20:21]
	v_fmac_f64_e32 v[132:133], -0.5, v[0:1]
	v_add_f64 v[0:1], v[18:19], -v[24:25]
	v_fma_f64 v[176:177], s[14:15], v[0:1], v[132:133]
	v_fmac_f64_e32 v[132:133], s[16:17], v[0:1]
	v_add_f64 v[0:1], v[134:135], v[18:19]
	v_add_f64 v[164:165], v[0:1], v[24:25]
	;; [unrolled: 1-line block ×3, first 2 shown]
	v_fmac_f64_e32 v[134:135], -0.5, v[0:1]
	v_add_f64 v[0:1], v[16:17], -v[20:21]
	v_fma_f64 v[178:179], s[16:17], v[0:1], v[134:135]
	v_fmac_f64_e32 v[134:135], s[14:15], v[0:1]
	s_movk_i32 s14, 0x6000
	v_add_co_u32_e32 v0, vcc, s14, v140
	v_add_f64 v[148:149], v[26:27], v[6:7]
	s_nop 0
	v_addc_co_u32_e32 v1, vcc, 0, v141, vcc
	ds_write_b128 v168, v[146:149]
	ds_write_b128 v168, v[150:153] offset:8448
	ds_write_b128 v168, v[136:139] offset:16896
	;; [unrolled: 1-line block ×8, first 2 shown]
	s_waitcnt lgkmcnt(0)
	s_barrier
	global_load_dwordx4 v[136:139], v[0:1], off offset:768
	v_add_co_u32_e32 v0, vcc, s0, v140
	s_mov_b32 s0, 0x9000
	s_nop 0
	v_addc_co_u32_e32 v1, vcc, 0, v141, vcc
	global_load_dwordx4 v[144:147], v[0:1], off offset:3008
	v_add_co_u32_e32 v0, vcc, s0, v140
	s_mov_b32 s0, 0xa000
	s_nop 0
	v_addc_co_u32_e32 v1, vcc, 0, v141, vcc
	v_add_co_u32_e32 v2, vcc, s0, v140
	global_load_dwordx4 v[148:151], v[0:1], off offset:1152
	s_nop 0
	v_addc_co_u32_e32 v3, vcc, 0, v141, vcc
	global_load_dwordx4 v[152:155], v[2:3], off offset:3392
	s_mov_b64 s[0:1], 0x6300
	v_lshl_add_u64 v[142:143], v[140:141], 0, s[0:1]
	global_load_dwordx4 v[156:159], v[142:143], off offset:2816
	s_mov_b32 s0, 0x8000
	v_add_co_u32_e32 v2, vcc, s0, v140
	s_mov_b32 s0, 0xb000
	s_nop 0
	v_addc_co_u32_e32 v3, vcc, 0, v141, vcc
	global_load_dwordx4 v[160:163], v[2:3], off offset:1728
	global_load_dwordx4 v[164:167], v[0:1], off offset:3968
	v_add_co_u32_e32 v0, vcc, s0, v140
	s_nop 1
	v_addc_co_u32_e32 v1, vcc, 0, v141, vcc
	global_load_dwordx4 v[176:179], v[0:1], off offset:2112
	ds_read_b128 v[182:185], v168
	ds_read_b128 v[186:189], v168 offset:2816
	ds_read_b128 v[194:197], v168 offset:6336
	s_waitcnt vmcnt(7) lgkmcnt(2)
	v_mul_f64 v[0:1], v[184:185], v[138:139]
	v_mul_f64 v[192:193], v[182:183], v[138:139]
	v_fma_f64 v[190:191], v[182:183], v[136:137], -v[0:1]
	v_fmac_f64_e32 v[192:193], v[184:185], v[136:137]
	ds_read_b128 v[136:139], v168 offset:9152
	ds_write_b128 v168, v[190:193]
	s_waitcnt vmcnt(6) lgkmcnt(2)
	v_mul_f64 v[0:1], v[196:197], v[146:147]
	ds_read_b128 v[190:193], v168 offset:12672
	v_mul_f64 v[184:185], v[194:195], v[146:147]
	v_fma_f64 v[182:183], v[194:195], v[144:145], -v[0:1]
	v_fmac_f64_e32 v[184:185], v[196:197], v[144:145]
	ds_read_b128 v[144:147], v168 offset:15488
	ds_read_b128 v[194:197], v168 offset:19008
	ds_write_b128 v168, v[182:185] offset:6336
	s_waitcnt vmcnt(5) lgkmcnt(3)
	v_mul_f64 v[0:1], v[192:193], v[150:151]
	v_mul_f64 v[184:185], v[190:191], v[150:151]
	v_fma_f64 v[182:183], v[190:191], v[148:149], -v[0:1]
	v_fmac_f64_e32 v[184:185], v[192:193], v[148:149]
	ds_read_b128 v[148:151], v168 offset:21824
	s_waitcnt vmcnt(4) lgkmcnt(2)
	v_mul_f64 v[0:1], v[196:197], v[154:155]
	ds_write_b128 v168, v[182:185] offset:12672
	v_fma_f64 v[182:183], v[194:195], v[152:153], -v[0:1]
	v_mul_f64 v[184:185], v[194:195], v[154:155]
	s_waitcnt vmcnt(3)
	v_mul_f64 v[0:1], v[188:189], v[158:159]
	v_mul_f64 v[154:155], v[186:187], v[158:159]
	v_fmac_f64_e32 v[184:185], v[196:197], v[152:153]
	v_fma_f64 v[152:153], v[186:187], v[156:157], -v[0:1]
	v_fmac_f64_e32 v[154:155], v[188:189], v[156:157]
	ds_write_b128 v168, v[152:155] offset:2816
	s_waitcnt vmcnt(2)
	v_mul_f64 v[0:1], v[138:139], v[162:163]
	v_mul_f64 v[154:155], v[136:137], v[162:163]
	v_fma_f64 v[152:153], v[136:137], v[160:161], -v[0:1]
	v_fmac_f64_e32 v[154:155], v[138:139], v[160:161]
	s_waitcnt vmcnt(1)
	v_mul_f64 v[0:1], v[146:147], v[166:167]
	v_mul_f64 v[138:139], v[144:145], v[166:167]
	v_fma_f64 v[136:137], v[144:145], v[164:165], -v[0:1]
	v_fmac_f64_e32 v[138:139], v[146:147], v[164:165]
	ds_write_b128 v168, v[136:139] offset:15488
	s_waitcnt vmcnt(0) lgkmcnt(3)
	v_mul_f64 v[0:1], v[150:151], v[178:179]
	v_mul_f64 v[138:139], v[148:149], v[178:179]
	v_fma_f64 v[136:137], v[148:149], v[176:177], -v[0:1]
	v_fmac_f64_e32 v[138:139], v[150:151], v[176:177]
	ds_write_b128 v168, v[182:185] offset:19008
	ds_write_b128 v168, v[152:155] offset:9152
	ds_write_b128 v168, v[136:139] offset:21824
	s_and_saveexec_b64 s[0:1], s[6:7]
	s_cbranch_execz .LBB0_21
; %bb.20:
	v_add_co_u32_e32 v0, vcc, 0x1000, v142
	s_movk_i32 s15, 0x4000
	s_nop 0
	v_addc_co_u32_e32 v1, vcc, 0, v143, vcc
	v_add_co_u32_e32 v2, vcc, s18, v142
	s_nop 1
	v_addc_co_u32_e32 v3, vcc, 0, v143, vcc
	global_load_dwordx4 v[136:139], v[0:1], off offset:1536
	global_load_dwordx4 v[144:147], v[2:3], off offset:3776
	v_add_co_u32_e32 v0, vcc, s15, v142
	s_nop 1
	v_addc_co_u32_e32 v1, vcc, 0, v143, vcc
	global_load_dwordx4 v[148:151], v[0:1], off offset:1920
	v_add_co_u32_e32 v0, vcc, s14, v142
	s_nop 1
	v_addc_co_u32_e32 v1, vcc, 0, v143, vcc
	global_load_dwordx4 v[140:143], v[0:1], off offset:64
	ds_read_b128 v[152:155], v168 offset:5632
	ds_read_b128 v[156:159], v168 offset:11968
	;; [unrolled: 1-line block ×4, first 2 shown]
	s_waitcnt vmcnt(3) lgkmcnt(3)
	v_mul_f64 v[0:1], v[154:155], v[138:139]
	v_mul_f64 v[178:179], v[152:153], v[138:139]
	s_waitcnt vmcnt(2) lgkmcnt(2)
	v_mul_f64 v[2:3], v[158:159], v[146:147]
	v_mul_f64 v[138:139], v[156:157], v[146:147]
	v_fma_f64 v[176:177], v[152:153], v[136:137], -v[0:1]
	v_fmac_f64_e32 v[178:179], v[154:155], v[136:137]
	v_fma_f64 v[136:137], v[156:157], v[144:145], -v[2:3]
	s_waitcnt vmcnt(1) lgkmcnt(1)
	v_mul_f64 v[4:5], v[162:163], v[150:151]
	v_mul_f64 v[146:147], v[160:161], v[150:151]
	v_fmac_f64_e32 v[138:139], v[158:159], v[144:145]
	v_fma_f64 v[144:145], v[160:161], v[148:149], -v[4:5]
	v_fmac_f64_e32 v[146:147], v[162:163], v[148:149]
	s_waitcnt vmcnt(0) lgkmcnt(0)
	v_mul_f64 v[6:7], v[166:167], v[142:143]
	v_mul_f64 v[150:151], v[164:165], v[142:143]
	v_fma_f64 v[148:149], v[164:165], v[140:141], -v[6:7]
	v_fmac_f64_e32 v[150:151], v[166:167], v[140:141]
	ds_write_b128 v168, v[176:179] offset:5632
	ds_write_b128 v168, v[136:139] offset:11968
	;; [unrolled: 1-line block ×4, first 2 shown]
.LBB0_21:
	s_or_b64 exec, exec, s[0:1]
	s_waitcnt lgkmcnt(0)
	s_barrier
	ds_read_b128 v[152:155], v168
	ds_read_b128 v[140:143], v168 offset:2816
	ds_read_b128 v[156:159], v168 offset:6336
	;; [unrolled: 1-line block ×7, first 2 shown]
	s_and_saveexec_b64 s[0:1], s[6:7]
	s_cbranch_execz .LBB0_23
; %bb.22:
	ds_read_b128 v[132:135], v168 offset:5632
	ds_read_b128 v[128:131], v168 offset:11968
	;; [unrolled: 1-line block ×4, first 2 shown]
.LBB0_23:
	s_or_b64 exec, exec, s[0:1]
	s_waitcnt lgkmcnt(3)
	v_add_f64 v[0:1], v[152:153], -v[164:165]
	v_add_f64 v[2:3], v[154:155], -v[166:167]
	s_waitcnt lgkmcnt(1)
	v_add_f64 v[8:9], v[156:157], -v[160:161]
	v_add_f64 v[10:11], v[158:159], -v[162:163]
	v_fma_f64 v[4:5], v[152:153], 2.0, -v[0:1]
	v_fma_f64 v[6:7], v[154:155], 2.0, -v[2:3]
	;; [unrolled: 1-line block ×4, first 2 shown]
	v_add_f64 v[160:161], v[0:1], v[10:11]
	v_add_f64 v[162:163], v[2:3], -v[8:9]
	v_add_f64 v[152:153], v[4:5], -v[12:13]
	;; [unrolled: 1-line block ×3, first 2 shown]
	v_fma_f64 v[164:165], v[0:1], 2.0, -v[160:161]
	v_fma_f64 v[166:167], v[2:3], 2.0, -v[162:163]
	v_add_f64 v[0:1], v[140:141], -v[148:149]
	v_add_f64 v[2:3], v[142:143], -v[150:151]
	s_waitcnt lgkmcnt(0)
	v_add_f64 v[8:9], v[136:137], -v[144:145]
	v_add_f64 v[10:11], v[138:139], -v[146:147]
	v_fma_f64 v[156:157], v[4:5], 2.0, -v[152:153]
	v_fma_f64 v[158:159], v[6:7], 2.0, -v[154:155]
	;; [unrolled: 1-line block ×6, first 2 shown]
	v_add_f64 v[144:145], v[0:1], v[10:11]
	v_add_f64 v[146:147], v[2:3], -v[8:9]
	v_add_f64 v[136:137], v[4:5], -v[12:13]
	;; [unrolled: 1-line block ×3, first 2 shown]
	v_fma_f64 v[148:149], v[0:1], 2.0, -v[144:145]
	v_fma_f64 v[150:151], v[2:3], 2.0, -v[146:147]
	v_add_f64 v[0:1], v[132:133], -v[124:125]
	v_add_f64 v[2:3], v[134:135], -v[126:127]
	;; [unrolled: 1-line block ×4, first 2 shown]
	v_fma_f64 v[140:141], v[4:5], 2.0, -v[136:137]
	v_fma_f64 v[142:143], v[6:7], 2.0, -v[138:139]
	;; [unrolled: 1-line block ×6, first 2 shown]
	v_add_f64 v[36:37], v[4:5], -v[12:13]
	v_add_f64 v[38:39], v[6:7], -v[14:15]
	v_add_f64 v[132:133], v[0:1], v[10:11]
	v_add_f64 v[134:135], v[2:3], -v[8:9]
	v_fma_f64 v[124:125], v[4:5], 2.0, -v[36:37]
	v_fma_f64 v[126:127], v[6:7], 2.0, -v[38:39]
	;; [unrolled: 1-line block ×4, first 2 shown]
	s_barrier
	ds_write_b128 v169, v[156:159]
	ds_write_b128 v169, v[164:167] offset:16
	ds_write_b128 v169, v[152:155] offset:32
	;; [unrolled: 1-line block ×3, first 2 shown]
	ds_write_b128 v23, v[140:143]
	ds_write_b128 v23, v[148:151] offset:16
	ds_write_b128 v23, v[136:139] offset:32
	;; [unrolled: 1-line block ×3, first 2 shown]
	s_and_saveexec_b64 s[0:1], s[6:7]
	s_cbranch_execz .LBB0_25
; %bb.24:
	v_accvgpr_read_b32 v0, a34
	ds_write_b128 v0, v[124:127]
	ds_write_b128 v0, v[128:131] offset:16
	ds_write_b128 v0, v[36:39] offset:32
	ds_write_b128 v0, v[132:135] offset:48
.LBB0_25:
	s_or_b64 exec, exec, s[0:1]
	s_waitcnt lgkmcnt(0)
	s_barrier
	ds_read_b128 v[144:147], v168
	ds_read_b128 v[140:143], v168 offset:2816
	ds_read_b128 v[160:163], v168 offset:12672
	;; [unrolled: 1-line block ×7, first 2 shown]
	s_and_saveexec_b64 s[0:1], s[2:3]
	s_cbranch_execz .LBB0_27
; %bb.26:
	ds_read_b128 v[124:127], v168 offset:11264
	ds_read_b128 v[128:131], v168 offset:23936
.LBB0_27:
	s_or_b64 exec, exec, s[0:1]
	s_waitcnt lgkmcnt(5)
	v_mul_f64 v[0:1], v[34:35], v[162:163]
	v_mul_f64 v[2:3], v[34:35], v[160:161]
	v_fmac_f64_e32 v[0:1], v[32:33], v[160:161]
	v_fma_f64 v[2:3], v[32:33], v[162:163], -v[2:3]
	s_waitcnt lgkmcnt(4)
	v_mul_f64 v[4:5], v[34:35], v[158:159]
	v_mul_f64 v[6:7], v[34:35], v[156:157]
	s_waitcnt lgkmcnt(0)
	v_mul_f64 v[16:17], v[34:35], v[130:131]
	v_mul_f64 v[18:19], v[34:35], v[128:129]
	v_fmac_f64_e32 v[4:5], v[32:33], v[156:157]
	v_fma_f64 v[6:7], v[32:33], v[158:159], -v[6:7]
	v_mul_f64 v[8:9], v[34:35], v[154:155]
	v_mul_f64 v[10:11], v[34:35], v[152:153]
	;; [unrolled: 1-line block ×4, first 2 shown]
	v_fmac_f64_e32 v[16:17], v[32:33], v[128:129]
	v_fma_f64 v[18:19], v[32:33], v[130:131], -v[18:19]
	v_add_f64 v[128:129], v[144:145], -v[0:1]
	v_add_f64 v[130:131], v[146:147], -v[2:3]
	v_fmac_f64_e32 v[8:9], v[32:33], v[152:153]
	v_fma_f64 v[10:11], v[32:33], v[154:155], -v[10:11]
	v_fmac_f64_e32 v[12:13], v[32:33], v[148:149]
	v_fma_f64 v[14:15], v[32:33], v[150:151], -v[14:15]
	v_fma_f64 v[144:145], v[144:145], 2.0, -v[128:129]
	v_fma_f64 v[146:147], v[146:147], 2.0, -v[130:131]
	v_add_f64 v[148:149], v[140:141], -v[4:5]
	v_add_f64 v[150:151], v[142:143], -v[6:7]
	v_accvgpr_read_b32 v0, a38
	v_fma_f64 v[152:153], v[140:141], 2.0, -v[148:149]
	v_fma_f64 v[154:155], v[142:143], 2.0, -v[150:151]
	v_add_f64 v[156:157], v[136:137], -v[8:9]
	v_add_f64 v[158:159], v[138:139], -v[10:11]
	s_barrier
	ds_write_b128 v0, v[144:147]
	ds_write_b128 v0, v[128:131] offset:64
	v_accvgpr_read_b32 v0, a37
	v_fma_f64 v[136:137], v[136:137], 2.0, -v[156:157]
	v_fma_f64 v[138:139], v[138:139], 2.0, -v[158:159]
	v_add_f64 v[160:161], v[132:133], -v[12:13]
	v_add_f64 v[162:163], v[134:135], -v[14:15]
	;; [unrolled: 1-line block ×4, first 2 shown]
	ds_write_b128 v0, v[152:155]
	ds_write_b128 v0, v[148:151] offset:64
	v_accvgpr_read_b32 v0, a36
	v_fma_f64 v[132:133], v[132:133], 2.0, -v[160:161]
	v_fma_f64 v[134:135], v[134:135], 2.0, -v[162:163]
	;; [unrolled: 1-line block ×4, first 2 shown]
	ds_write_b128 v0, v[136:139]
	ds_write_b128 v0, v[156:159] offset:64
	v_accvgpr_read_b32 v0, a35
	ds_write_b128 v0, v[132:135]
	ds_write_b128 v0, v[160:163] offset:64
	s_and_saveexec_b64 s[0:1], s[2:3]
	s_cbranch_execz .LBB0_29
; %bb.28:
	s_movk_i32 s14, 0x7f8
	v_accvgpr_read_b32 v0, a33
	v_and_or_b32 v0, v175, s14, v0
	v_lshlrev_b32_e32 v0, 4, v0
	ds_write_b128 v0, v[140:143]
	ds_write_b128 v0, v[32:35] offset:64
.LBB0_29:
	s_or_b64 exec, exec, s[0:1]
	s_waitcnt lgkmcnt(0)
	s_barrier
	ds_read_b128 v[128:131], v168
	ds_read_b128 v[124:127], v168 offset:2816
	ds_read_b128 v[156:159], v168 offset:12672
	;; [unrolled: 1-line block ×7, first 2 shown]
	s_and_saveexec_b64 s[0:1], s[2:3]
	s_cbranch_execz .LBB0_31
; %bb.30:
	ds_read_b128 v[140:143], v168 offset:11264
	ds_read_b128 v[32:35], v168 offset:23936
.LBB0_31:
	s_or_b64 exec, exec, s[0:1]
	s_waitcnt lgkmcnt(5)
	v_mul_f64 v[0:1], v[42:43], v[158:159]
	v_mul_f64 v[2:3], v[42:43], v[156:157]
	v_fmac_f64_e32 v[0:1], v[40:41], v[156:157]
	v_fma_f64 v[2:3], v[40:41], v[158:159], -v[2:3]
	s_waitcnt lgkmcnt(4)
	v_mul_f64 v[4:5], v[42:43], v[154:155]
	v_mul_f64 v[6:7], v[42:43], v[152:153]
	s_waitcnt lgkmcnt(1)
	v_mul_f64 v[8:9], v[42:43], v[150:151]
	v_mul_f64 v[10:11], v[42:43], v[148:149]
	;; [unrolled: 3-line block ×3, first 2 shown]
	v_mul_f64 v[16:17], v[42:43], v[34:35]
	v_mul_f64 v[18:19], v[42:43], v[32:33]
	v_fmac_f64_e32 v[4:5], v[40:41], v[152:153]
	v_fma_f64 v[6:7], v[40:41], v[154:155], -v[6:7]
	v_fmac_f64_e32 v[8:9], v[40:41], v[148:149]
	v_fma_f64 v[10:11], v[40:41], v[150:151], -v[10:11]
	;; [unrolled: 2-line block ×4, first 2 shown]
	v_add_f64 v[40:41], v[128:129], -v[0:1]
	v_add_f64 v[42:43], v[130:131], -v[2:3]
	v_fma_f64 v[32:33], v[128:129], 2.0, -v[40:41]
	v_fma_f64 v[34:35], v[130:131], 2.0, -v[42:43]
	v_add_f64 v[128:129], v[124:125], -v[4:5]
	v_add_f64 v[130:131], v[126:127], -v[6:7]
	v_accvgpr_read_b32 v0, a39
	v_fma_f64 v[124:125], v[124:125], 2.0, -v[128:129]
	v_fma_f64 v[126:127], v[126:127], 2.0, -v[130:131]
	v_add_f64 v[144:145], v[132:133], -v[8:9]
	v_add_f64 v[146:147], v[134:135], -v[10:11]
	;; [unrolled: 1-line block ×4, first 2 shown]
	s_barrier
	ds_write_b128 v0, v[32:35]
	ds_write_b128 v0, v[40:43] offset:128
	v_accvgpr_read_b32 v0, a41
	v_fma_f64 v[132:133], v[132:133], 2.0, -v[144:145]
	v_fma_f64 v[134:135], v[134:135], 2.0, -v[146:147]
	;; [unrolled: 1-line block ×4, first 2 shown]
	v_add_f64 v[136:137], v[140:141], -v[16:17]
	v_add_f64 v[138:139], v[142:143], -v[18:19]
	ds_write_b128 v0, v[124:127]
	ds_write_b128 v0, v[128:131] offset:128
	v_accvgpr_read_b32 v0, a42
	v_fma_f64 v[140:141], v[140:141], 2.0, -v[136:137]
	v_fma_f64 v[142:143], v[142:143], 2.0, -v[138:139]
	ds_write_b128 v0, v[132:135]
	ds_write_b128 v0, v[144:147] offset:128
	v_accvgpr_read_b32 v0, a43
	ds_write_b128 v0, v[152:155]
	ds_write_b128 v0, v[148:151] offset:128
	s_and_saveexec_b64 s[0:1], s[2:3]
	s_cbranch_execz .LBB0_33
; %bb.32:
	s_movk_i32 s2, 0x7f0
	v_and_or_b32 v0, v175, s2, v173
	v_lshlrev_b32_e32 v0, 4, v0
	ds_write_b128 v0, v[140:143]
	ds_write_b128 v0, v[136:139] offset:128
.LBB0_33:
	s_or_b64 exec, exec, s[0:1]
	s_waitcnt lgkmcnt(0)
	s_barrier
	s_and_saveexec_b64 s[0:1], s[4:5]
	s_cbranch_execz .LBB0_35
; %bb.34:
	ds_read_b128 v[32:35], v168
	ds_read_b128 v[40:43], v168 offset:2304
	ds_read_b128 v[124:127], v168 offset:4608
	;; [unrolled: 1-line block ×10, first 2 shown]
.LBB0_35:
	s_or_b64 exec, exec, s[0:1]
	s_waitcnt lgkmcnt(0)
	s_barrier
	s_and_saveexec_b64 s[0:1], s[4:5]
	s_cbranch_execz .LBB0_37
; %bb.36:
	v_mul_f64 v[156:157], v[82:83], v[146:147]
	v_mul_f64 v[2:3], v[82:83], v[144:145]
	v_fmac_f64_e32 v[156:157], v[80:81], v[144:145]
	v_mul_f64 v[158:159], v[78:79], v[154:155]
	v_fma_f64 v[80:81], v[80:81], v[146:147], -v[2:3]
	v_mul_f64 v[2:3], v[78:79], v[152:153]
	v_fmac_f64_e32 v[158:159], v[76:77], v[152:153]
	v_fma_f64 v[82:83], v[76:77], v[154:155], -v[2:3]
	v_mul_f64 v[76:77], v[58:59], v[134:135]
	v_mul_f64 v[6:7], v[58:59], v[132:133]
	;; [unrolled: 1-line block ×3, first 2 shown]
	v_fmac_f64_e32 v[76:77], v[56:57], v[132:133]
	v_mul_f64 v[78:79], v[74:75], v[150:151]
	v_fma_f64 v[132:133], v[56:57], v[134:135], -v[6:7]
	v_mul_f64 v[6:7], v[74:75], v[148:149]
	v_mul_f64 v[56:57], v[66:67], v[142:143]
	v_fma_f64 v[74:75], v[52:53], v[130:131], -v[10:11]
	v_mul_f64 v[10:11], v[66:67], v[140:141]
	v_fmac_f64_e32 v[78:79], v[72:73], v[148:149]
	v_fma_f64 v[58:59], v[72:73], v[150:151], -v[6:7]
	v_mul_f64 v[72:73], v[54:55], v[130:131]
	v_fmac_f64_e32 v[56:57], v[64:65], v[140:141]
	v_fma_f64 v[54:55], v[64:65], v[142:143], -v[10:11]
	v_mul_f64 v[64:65], v[50:51], v[126:127]
	v_mul_f64 v[14:15], v[50:51], v[124:125]
	v_fmac_f64_e32 v[72:73], v[52:53], v[128:129]
	v_fmac_f64_e32 v[64:65], v[48:49], v[124:125]
	v_mul_f64 v[52:53], v[70:71], v[138:139]
	v_fma_f64 v[124:125], v[48:49], v[126:127], -v[14:15]
	v_mul_f64 v[14:15], v[70:71], v[136:137]
	v_mul_f64 v[70:71], v[46:47], v[42:43]
	;; [unrolled: 1-line block ×4, first 2 shown]
	v_fmac_f64_e32 v[70:71], v[44:45], v[40:41]
	v_fmac_f64_e32 v[66:67], v[60:61], v[36:37]
	s_mov_b32 s26, 0xfd768dbf
	v_fma_f64 v[126:127], v[44:45], v[42:43], -v[18:19]
	v_mul_f64 v[18:19], v[62:63], v[36:37]
	v_fmac_f64_e32 v[52:53], v[68:69], v[136:137]
	s_mov_b32 s28, 0xf8bb580b
	v_add_f64 v[154:155], v[70:71], -v[66:67]
	s_mov_b32 s27, 0xbfd207e7
	v_fma_f64 v[60:61], v[60:61], v[38:39], -v[18:19]
	s_mov_b32 s24, 0x9bcd5057
	s_mov_b32 s22, 0xbb3a28a1
	v_add_f64 v[140:141], v[64:65], -v[52:53]
	s_mov_b32 s29, 0x3fe14ced
	v_fma_f64 v[68:69], v[68:69], v[138:139], -v[14:15]
	s_mov_b32 s20, 0x8764f0ba
	v_mul_f64 v[16:17], v[154:155], s[26:27]
	v_add_f64 v[62:63], v[60:61], v[126:127]
	s_mov_b32 s25, 0xbfeeb42a
	v_add_f64 v[148:149], v[72:73], -v[56:57]
	s_mov_b32 s23, 0xbfe82f19
	s_mov_b32 s18, 0x7f775887
	v_mul_f64 v[12:13], v[140:141], s[28:29]
	v_add_f64 v[130:131], v[68:69], v[124:125]
	s_mov_b32 s21, 0x3feaeb8c
	v_fma_f64 v[18:19], s[24:25], v[62:63], v[16:17]
	v_add_f64 v[178:179], v[126:127], -v[60:61]
	s_mov_b32 s4, 0x43842ef
	v_add_f64 v[146:147], v[76:77], -v[78:79]
	s_mov_b32 s17, 0x3fed1bb4
	s_mov_b32 s16, 0x8eee2c13
	;; [unrolled: 1-line block ×3, first 2 shown]
	v_mul_f64 v[8:9], v[148:149], s[22:23]
	v_add_f64 v[128:129], v[74:75], v[54:55]
	s_mov_b32 s19, 0xbfe4f49e
	v_fma_f64 v[14:15], s[20:21], v[130:131], v[12:13]
	v_add_f64 v[18:19], v[34:35], v[18:19]
	v_add_f64 v[176:177], v[124:125], -v[68:69]
	v_add_f64 v[152:153], v[66:67], v[70:71]
	v_mul_f64 v[28:29], v[178:179], s[26:27]
	v_add_f64 v[160:161], v[156:157], -v[158:159]
	s_mov_b32 s5, 0xbfefac9e
	s_mov_b32 s2, 0x640f44db
	v_mul_f64 v[4:5], v[146:147], s[16:17]
	v_add_f64 v[134:135], v[132:133], v[58:59]
	s_mov_b32 s15, 0x3fda9628
	v_fma_f64 v[10:11], s[18:19], v[128:129], v[8:9]
	v_add_f64 v[14:15], v[14:15], v[18:19]
	v_add_f64 v[166:167], v[74:75], -v[54:55]
	v_add_f64 v[150:151], v[52:53], v[64:65]
	v_mul_f64 v[24:25], v[176:177], s[28:29]
	v_fma_f64 v[30:31], v[152:153], s[24:25], -v[28:29]
	v_mul_f64 v[0:1], v[160:161], s[4:5]
	v_add_f64 v[144:145], v[82:83], v[80:81]
	s_mov_b32 s3, 0xbfc2375f
	v_fma_f64 v[6:7], s[14:15], v[134:135], v[4:5]
	v_add_f64 v[10:11], v[10:11], v[14:15]
	v_add_f64 v[164:165], v[132:133], -v[58:59]
	v_add_f64 v[142:143], v[72:73], v[56:57]
	v_mul_f64 v[18:19], v[166:167], s[22:23]
	v_fma_f64 v[26:27], v[150:151], s[20:21], -v[24:25]
	v_add_f64 v[30:31], v[32:33], v[30:31]
	v_fma_f64 v[2:3], s[2:3], v[144:145], v[0:1]
	v_add_f64 v[6:7], v[6:7], v[10:11]
	v_add_f64 v[162:163], v[80:81], -v[82:83]
	v_add_f64 v[138:139], v[76:77], v[78:79]
	v_mul_f64 v[10:11], v[164:165], s[16:17]
	v_fma_f64 v[20:21], v[142:143], s[18:19], -v[18:19]
	v_add_f64 v[26:27], v[26:27], v[30:31]
	v_add_f64 v[38:39], v[2:3], v[6:7]
	;; [unrolled: 1-line block ×3, first 2 shown]
	v_mul_f64 v[2:3], v[162:163], s[4:5]
	v_fma_f64 v[14:15], v[138:139], s[14:15], -v[10:11]
	v_add_f64 v[20:21], v[20:21], v[26:27]
	v_fma_f64 v[6:7], v[136:137], s[2:3], -v[2:3]
	v_add_f64 v[14:15], v[14:15], v[20:21]
	v_add_f64 v[36:37], v[6:7], v[14:15]
	v_fma_f64 v[6:7], v[128:129], s[18:19], -v[8:9]
	v_fma_f64 v[8:9], v[130:131], s[20:21], -v[12:13]
	;; [unrolled: 1-line block ×3, first 2 shown]
	v_add_f64 v[12:13], v[34:35], v[12:13]
	v_add_f64 v[8:9], v[8:9], v[12:13]
	v_fma_f64 v[4:5], v[134:135], s[14:15], -v[4:5]
	v_add_f64 v[6:7], v[6:7], v[8:9]
	v_fma_f64 v[0:1], v[144:145], s[2:3], -v[0:1]
	v_add_f64 v[4:5], v[4:5], v[6:7]
	v_fmac_f64_e32 v[28:29], s[24:25], v[152:153]
	v_add_f64 v[42:43], v[0:1], v[4:5]
	v_fmac_f64_e32 v[24:25], s[20:21], v[150:151]
	;; [unrolled: 2-line block ×3, first 2 shown]
	v_add_f64 v[0:1], v[24:25], v[0:1]
	s_mov_b32 s35, 0x3fefac9e
	s_mov_b32 s34, s4
	v_mul_f64 v[16:17], v[154:155], s[22:23]
	v_add_f64 v[0:1], v[18:19], v[0:1]
	s_mov_b32 s31, 0xbfe14ced
	s_mov_b32 s30, s28
	v_mul_f64 v[12:13], v[140:141], s[34:35]
	v_fma_f64 v[18:19], s[18:19], v[62:63], v[16:17]
	v_fmac_f64_e32 v[10:11], s[14:15], v[138:139]
	v_mul_f64 v[8:9], v[148:149], s[30:31]
	v_fma_f64 v[14:15], s[2:3], v[130:131], v[12:13]
	v_add_f64 v[18:19], v[34:35], v[18:19]
	v_mul_f64 v[28:29], v[178:179], s[22:23]
	v_fmac_f64_e32 v[2:3], s[2:3], v[136:137]
	v_add_f64 v[0:1], v[10:11], v[0:1]
	v_mul_f64 v[4:5], v[146:147], s[26:27]
	v_fma_f64 v[10:11], s[20:21], v[128:129], v[8:9]
	v_add_f64 v[14:15], v[14:15], v[18:19]
	v_mul_f64 v[24:25], v[176:177], s[34:35]
	v_fma_f64 v[30:31], v[152:153], s[18:19], -v[28:29]
	v_add_f64 v[40:41], v[2:3], v[0:1]
	v_mul_f64 v[0:1], v[160:161], s[16:17]
	v_fma_f64 v[6:7], s[24:25], v[134:135], v[4:5]
	v_add_f64 v[10:11], v[10:11], v[14:15]
	v_mul_f64 v[18:19], v[166:167], s[30:31]
	v_fma_f64 v[26:27], v[150:151], s[2:3], -v[24:25]
	v_add_f64 v[30:31], v[32:33], v[30:31]
	v_fma_f64 v[2:3], s[14:15], v[144:145], v[0:1]
	v_add_f64 v[6:7], v[6:7], v[10:11]
	v_mul_f64 v[10:11], v[164:165], s[26:27]
	v_fma_f64 v[20:21], v[142:143], s[20:21], -v[18:19]
	v_add_f64 v[26:27], v[26:27], v[30:31]
	v_add_f64 v[46:47], v[2:3], v[6:7]
	v_mul_f64 v[2:3], v[162:163], s[16:17]
	v_fma_f64 v[14:15], v[138:139], s[24:25], -v[10:11]
	v_add_f64 v[20:21], v[20:21], v[26:27]
	v_fma_f64 v[6:7], v[136:137], s[14:15], -v[2:3]
	v_add_f64 v[14:15], v[14:15], v[20:21]
	v_add_f64 v[44:45], v[6:7], v[14:15]
	v_fma_f64 v[6:7], v[128:129], s[20:21], -v[8:9]
	v_fma_f64 v[8:9], v[130:131], s[2:3], -v[12:13]
	;; [unrolled: 1-line block ×3, first 2 shown]
	v_add_f64 v[12:13], v[34:35], v[12:13]
	v_add_f64 v[8:9], v[8:9], v[12:13]
	v_fma_f64 v[4:5], v[134:135], s[24:25], -v[4:5]
	v_add_f64 v[6:7], v[6:7], v[8:9]
	v_fma_f64 v[0:1], v[144:145], s[14:15], -v[0:1]
	v_add_f64 v[4:5], v[4:5], v[6:7]
	v_fmac_f64_e32 v[28:29], s[18:19], v[152:153]
	v_add_f64 v[50:51], v[0:1], v[4:5]
	v_fmac_f64_e32 v[24:25], s[2:3], v[150:151]
	;; [unrolled: 2-line block ×3, first 2 shown]
	v_add_f64 v[0:1], v[24:25], v[0:1]
	s_mov_b32 s37, 0x3fd207e7
	s_mov_b32 s36, s26
	v_mul_f64 v[16:17], v[154:155], s[4:5]
	v_add_f64 v[0:1], v[18:19], v[0:1]
	v_mul_f64 v[12:13], v[140:141], s[36:37]
	v_fma_f64 v[18:19], s[2:3], v[62:63], v[16:17]
	v_fmac_f64_e32 v[10:11], s[24:25], v[138:139]
	v_mul_f64 v[8:9], v[148:149], s[16:17]
	v_fma_f64 v[14:15], s[24:25], v[130:131], v[12:13]
	v_add_f64 v[18:19], v[34:35], v[18:19]
	v_mul_f64 v[28:29], v[178:179], s[4:5]
	v_fmac_f64_e32 v[2:3], s[14:15], v[136:137]
	v_add_f64 v[0:1], v[10:11], v[0:1]
	v_mul_f64 v[4:5], v[146:147], s[30:31]
	v_fma_f64 v[10:11], s[14:15], v[128:129], v[8:9]
	v_add_f64 v[14:15], v[14:15], v[18:19]
	v_mul_f64 v[24:25], v[176:177], s[36:37]
	v_fma_f64 v[30:31], v[152:153], s[2:3], -v[28:29]
	v_add_f64 v[48:49], v[2:3], v[0:1]
	v_mul_f64 v[0:1], v[160:161], s[22:23]
	v_fma_f64 v[6:7], s[20:21], v[134:135], v[4:5]
	v_add_f64 v[10:11], v[10:11], v[14:15]
	v_mul_f64 v[18:19], v[166:167], s[16:17]
	v_fma_f64 v[26:27], v[150:151], s[24:25], -v[24:25]
	v_add_f64 v[30:31], v[32:33], v[30:31]
	v_fma_f64 v[2:3], s[18:19], v[144:145], v[0:1]
	v_add_f64 v[6:7], v[6:7], v[10:11]
	v_mul_f64 v[10:11], v[164:165], s[30:31]
	v_fma_f64 v[20:21], v[142:143], s[14:15], -v[18:19]
	v_add_f64 v[26:27], v[26:27], v[30:31]
	v_add_f64 v[184:185], v[2:3], v[6:7]
	v_mul_f64 v[2:3], v[162:163], s[22:23]
	v_fma_f64 v[14:15], v[138:139], s[20:21], -v[10:11]
	v_add_f64 v[20:21], v[20:21], v[26:27]
	v_fma_f64 v[6:7], v[136:137], s[18:19], -v[2:3]
	v_add_f64 v[14:15], v[14:15], v[20:21]
	v_add_f64 v[182:183], v[6:7], v[14:15]
	v_fma_f64 v[6:7], v[128:129], s[14:15], -v[8:9]
	v_fma_f64 v[8:9], v[130:131], s[24:25], -v[12:13]
	;; [unrolled: 1-line block ×3, first 2 shown]
	v_add_f64 v[12:13], v[34:35], v[12:13]
	v_add_f64 v[8:9], v[8:9], v[12:13]
	v_fma_f64 v[4:5], v[134:135], s[20:21], -v[4:5]
	v_add_f64 v[6:7], v[6:7], v[8:9]
	v_fma_f64 v[0:1], v[144:145], s[18:19], -v[0:1]
	v_add_f64 v[4:5], v[4:5], v[6:7]
	v_fmac_f64_e32 v[28:29], s[2:3], v[152:153]
	v_add_f64 v[188:189], v[0:1], v[4:5]
	v_fmac_f64_e32 v[24:25], s[24:25], v[150:151]
	v_add_f64 v[0:1], v[32:33], v[28:29]
	s_mov_b32 s17, 0xbfed1bb4
	v_fmac_f64_e32 v[18:19], s[14:15], v[142:143]
	v_add_f64 v[0:1], v[24:25], v[0:1]
	v_mul_f64 v[16:17], v[154:155], s[16:17]
	v_add_f64 v[0:1], v[18:19], v[0:1]
	v_mul_f64 v[12:13], v[140:141], s[22:23]
	v_fma_f64 v[18:19], s[14:15], v[62:63], v[16:17]
	v_fmac_f64_e32 v[10:11], s[20:21], v[138:139]
	v_mul_f64 v[8:9], v[148:149], s[36:37]
	v_fma_f64 v[14:15], s[18:19], v[130:131], v[12:13]
	v_add_f64 v[18:19], v[34:35], v[18:19]
	v_mul_f64 v[28:29], v[178:179], s[16:17]
	v_fmac_f64_e32 v[2:3], s[18:19], v[136:137]
	v_add_f64 v[0:1], v[10:11], v[0:1]
	v_mul_f64 v[4:5], v[146:147], s[34:35]
	v_fma_f64 v[10:11], s[24:25], v[128:129], v[8:9]
	v_add_f64 v[14:15], v[14:15], v[18:19]
	v_mul_f64 v[24:25], v[176:177], s[22:23]
	v_fma_f64 v[30:31], v[152:153], s[14:15], -v[28:29]
	v_add_f64 v[186:187], v[2:3], v[0:1]
	v_mul_f64 v[0:1], v[160:161], s[28:29]
	v_fma_f64 v[6:7], s[2:3], v[134:135], v[4:5]
	v_add_f64 v[10:11], v[10:11], v[14:15]
	v_mul_f64 v[18:19], v[166:167], s[36:37]
	v_fma_f64 v[26:27], v[150:151], s[18:19], -v[24:25]
	v_add_f64 v[30:31], v[32:33], v[30:31]
	v_fma_f64 v[2:3], s[20:21], v[144:145], v[0:1]
	v_add_f64 v[6:7], v[6:7], v[10:11]
	v_mul_f64 v[10:11], v[164:165], s[34:35]
	v_fma_f64 v[20:21], v[142:143], s[24:25], -v[18:19]
	v_add_f64 v[26:27], v[26:27], v[30:31]
	v_add_f64 v[192:193], v[2:3], v[6:7]
	v_mul_f64 v[2:3], v[162:163], s[28:29]
	v_fma_f64 v[14:15], v[138:139], s[2:3], -v[10:11]
	v_add_f64 v[20:21], v[20:21], v[26:27]
	v_fma_f64 v[6:7], v[136:137], s[20:21], -v[2:3]
	v_add_f64 v[14:15], v[14:15], v[20:21]
	v_add_f64 v[190:191], v[6:7], v[14:15]
	v_fma_f64 v[6:7], v[128:129], s[24:25], -v[8:9]
	v_fma_f64 v[8:9], v[130:131], s[18:19], -v[12:13]
	;; [unrolled: 1-line block ×3, first 2 shown]
	v_add_f64 v[12:13], v[34:35], v[12:13]
	v_add_f64 v[8:9], v[8:9], v[12:13]
	v_fma_f64 v[4:5], v[134:135], s[2:3], -v[4:5]
	v_add_f64 v[6:7], v[6:7], v[8:9]
	v_fma_f64 v[0:1], v[144:145], s[20:21], -v[0:1]
	v_add_f64 v[4:5], v[4:5], v[6:7]
	v_fmac_f64_e32 v[28:29], s[14:15], v[152:153]
	v_add_f64 v[196:197], v[0:1], v[4:5]
	v_fmac_f64_e32 v[24:25], s[18:19], v[150:151]
	v_add_f64 v[0:1], v[32:33], v[28:29]
	v_fmac_f64_e32 v[18:19], s[24:25], v[142:143]
	v_add_f64 v[0:1], v[24:25], v[0:1]
	v_mul_f64 v[16:17], v[154:155], s[30:31]
	v_add_f64 v[0:1], v[18:19], v[0:1]
	v_mul_f64 v[12:13], v[140:141], s[16:17]
	v_fma_f64 v[18:19], s[20:21], v[62:63], v[16:17]
	v_fmac_f64_e32 v[10:11], s[2:3], v[138:139]
	v_mul_f64 v[8:9], v[148:149], s[4:5]
	v_fma_f64 v[14:15], s[14:15], v[130:131], v[12:13]
	v_add_f64 v[18:19], v[34:35], v[18:19]
	v_mul_f64 v[28:29], v[178:179], s[30:31]
	v_fmac_f64_e32 v[2:3], s[20:21], v[136:137]
	v_add_f64 v[0:1], v[10:11], v[0:1]
	v_mul_f64 v[4:5], v[146:147], s[22:23]
	v_fma_f64 v[10:11], s[2:3], v[128:129], v[8:9]
	v_add_f64 v[14:15], v[14:15], v[18:19]
	v_mul_f64 v[24:25], v[176:177], s[16:17]
	v_fma_f64 v[30:31], v[152:153], s[20:21], -v[28:29]
	v_add_f64 v[194:195], v[2:3], v[0:1]
	v_mul_f64 v[0:1], v[160:161], s[26:27]
	v_fma_f64 v[6:7], s[18:19], v[134:135], v[4:5]
	v_add_f64 v[10:11], v[10:11], v[14:15]
	v_mul_f64 v[18:19], v[166:167], s[4:5]
	v_fma_f64 v[26:27], v[150:151], s[14:15], -v[24:25]
	v_add_f64 v[30:31], v[32:33], v[30:31]
	v_fma_f64 v[2:3], s[24:25], v[144:145], v[0:1]
	v_add_f64 v[6:7], v[6:7], v[10:11]
	v_mul_f64 v[10:11], v[164:165], s[22:23]
	v_fma_f64 v[20:21], v[142:143], s[2:3], -v[18:19]
	v_add_f64 v[26:27], v[26:27], v[30:31]
	v_add_f64 v[148:149], v[2:3], v[6:7]
	v_mul_f64 v[2:3], v[162:163], s[26:27]
	v_fma_f64 v[14:15], v[138:139], s[18:19], -v[10:11]
	v_add_f64 v[20:21], v[20:21], v[26:27]
	v_fma_f64 v[6:7], v[136:137], s[24:25], -v[2:3]
	v_add_f64 v[14:15], v[14:15], v[20:21]
	v_add_f64 v[146:147], v[6:7], v[14:15]
	v_fma_f64 v[6:7], v[128:129], s[2:3], -v[8:9]
	v_fma_f64 v[8:9], v[130:131], s[14:15], -v[12:13]
	;; [unrolled: 1-line block ×3, first 2 shown]
	v_add_f64 v[12:13], v[34:35], v[12:13]
	v_add_f64 v[8:9], v[8:9], v[12:13]
	v_fma_f64 v[4:5], v[134:135], s[18:19], -v[4:5]
	v_add_f64 v[6:7], v[6:7], v[8:9]
	v_fma_f64 v[0:1], v[144:145], s[24:25], -v[0:1]
	v_add_f64 v[4:5], v[4:5], v[6:7]
	v_fmac_f64_e32 v[28:29], s[20:21], v[152:153]
	v_add_f64 v[130:131], v[0:1], v[4:5]
	v_fmac_f64_e32 v[24:25], s[14:15], v[150:151]
	;; [unrolled: 2-line block ×5, first 2 shown]
	v_add_f64 v[0:1], v[10:11], v[0:1]
	v_add_f64 v[128:129], v[2:3], v[0:1]
	;; [unrolled: 1-line block ×22, first 2 shown]
	v_accvgpr_read_b32 v0, a40
	v_mul_u32_u24_e32 v0, 0xb0, v0
	v_or_b32_e32 v0, v0, v174
	v_lshlrev_b32_e32 v0, 4, v0
	ds_write_b128 v0, v[32:35]
	ds_write_b128 v0, v[128:131] offset:256
	ds_write_b128 v0, v[194:197] offset:512
	;; [unrolled: 1-line block ×10, first 2 shown]
.LBB0_37:
	s_or_b64 exec, exec, s[0:1]
	s_waitcnt lgkmcnt(0)
	s_barrier
	ds_read_b128 v[38:41], v168
	ds_read_b128 v[42:45], v168 offset:2816
	ds_read_b128 v[46:49], v168 offset:16896
	;; [unrolled: 1-line block ×8, first 2 shown]
	s_waitcnt lgkmcnt(4)
	v_mul_f64 v[0:1], v[90:91], v[56:57]
	v_fmac_f64_e32 v[0:1], v[88:89], v[54:55]
	v_mul_f64 v[4:5], v[86:87], v[48:49]
	v_mad_u64_u32 v[34:35], s[0:1], s10, v22, 0
	v_mul_f64 v[2:3], v[90:91], v[54:55]
	v_fmac_f64_e32 v[4:5], v[84:85], v[46:47]
	v_mul_f64 v[6:7], v[86:87], v[46:47]
	v_add_f64 v[26:27], v[38:39], v[0:1]
	v_fma_f64 v[2:3], v[88:89], v[56:57], -v[2:3]
	v_fma_f64 v[6:7], v[84:85], v[48:49], -v[6:7]
	v_add_f64 v[46:47], v[26:27], v[4:5]
	v_add_f64 v[26:27], v[0:1], v[4:5]
	s_mov_b32 s0, 0xe8584caa
	v_mul_f64 v[12:13], v[86:87], v[52:53]
	v_fmac_f64_e32 v[38:39], -0.5, v[26:27]
	v_add_f64 v[26:27], v[2:3], -v[6:7]
	s_mov_b32 s1, 0xbfebb67a
	s_mov_b32 s3, 0x3febb67a
	;; [unrolled: 1-line block ×3, first 2 shown]
	s_waitcnt lgkmcnt(2)
	v_mul_f64 v[8:9], v[90:91], v[64:65]
	v_fmac_f64_e32 v[12:13], v[84:85], v[50:51]
	v_mul_f64 v[14:15], v[86:87], v[50:51]
	v_fma_f64 v[50:51], s[0:1], v[26:27], v[38:39]
	v_fmac_f64_e32 v[38:39], s[2:3], v[26:27]
	v_add_f64 v[26:27], v[40:41], v[2:3]
	v_add_f64 v[2:3], v[2:3], v[6:7]
	v_fmac_f64_e32 v[8:9], v[88:89], v[62:63]
	v_fmac_f64_e32 v[40:41], -0.5, v[2:3]
	v_add_f64 v[0:1], v[0:1], -v[4:5]
	v_mul_f64 v[10:11], v[90:91], v[62:63]
	v_fma_f64 v[14:15], v[84:85], v[52:53], -v[14:15]
	v_fma_f64 v[52:53], s[2:3], v[0:1], v[40:41]
	v_fmac_f64_e32 v[40:41], s[0:1], v[0:1]
	v_add_f64 v[0:1], v[42:43], v[8:9]
	v_fma_f64 v[10:11], v[88:89], v[64:65], -v[10:11]
	v_add_f64 v[54:55], v[0:1], v[12:13]
	v_add_f64 v[0:1], v[8:9], v[12:13]
	v_fmac_f64_e32 v[42:43], -0.5, v[0:1]
	v_add_f64 v[0:1], v[10:11], -v[14:15]
	v_fma_f64 v[62:63], s[0:1], v[0:1], v[42:43]
	v_fmac_f64_e32 v[42:43], s[2:3], v[0:1]
	v_add_f64 v[0:1], v[44:45], v[10:11]
	s_waitcnt lgkmcnt(1)
	v_mul_f64 v[16:17], v[98:99], v[68:69]
	v_add_f64 v[56:57], v[0:1], v[14:15]
	v_add_f64 v[0:1], v[10:11], v[14:15]
	v_fmac_f64_e32 v[16:17], v[96:97], v[66:67]
	s_waitcnt lgkmcnt(0)
	v_mul_f64 v[20:21], v[94:95], v[72:73]
	v_fmac_f64_e32 v[44:45], -0.5, v[0:1]
	v_add_f64 v[0:1], v[8:9], -v[12:13]
	v_mul_f64 v[18:19], v[98:99], v[66:67]
	v_fmac_f64_e32 v[20:21], v[92:93], v[70:71]
	v_mul_f64 v[24:25], v[94:95], v[70:71]
	v_fma_f64 v[64:65], s[2:3], v[0:1], v[44:45]
	v_fmac_f64_e32 v[44:45], s[0:1], v[0:1]
	v_add_f64 v[0:1], v[58:59], v[16:17]
	v_fma_f64 v[18:19], v[96:97], v[68:69], -v[18:19]
	v_fma_f64 v[24:25], v[92:93], v[72:73], -v[24:25]
	v_add_f64 v[66:67], v[0:1], v[20:21]
	v_add_f64 v[0:1], v[16:17], v[20:21]
	v_fmac_f64_e32 v[58:59], -0.5, v[0:1]
	v_add_f64 v[0:1], v[18:19], -v[24:25]
	v_fma_f64 v[70:71], s[0:1], v[0:1], v[58:59]
	v_fmac_f64_e32 v[58:59], s[2:3], v[0:1]
	v_add_f64 v[0:1], v[60:61], v[18:19]
	v_add_f64 v[68:69], v[0:1], v[24:25]
	;; [unrolled: 1-line block ×3, first 2 shown]
	v_fmac_f64_e32 v[60:61], -0.5, v[0:1]
	v_add_f64 v[0:1], v[16:17], -v[20:21]
	v_add_f64 v[48:49], v[26:27], v[6:7]
	v_fma_f64 v[72:73], s[2:3], v[0:1], v[60:61]
	v_fmac_f64_e32 v[60:61], s[0:1], v[0:1]
	s_barrier
	ds_write_b128 v168, v[46:49]
	ds_write_b128 v168, v[50:53] offset:2816
	ds_write_b128 v168, v[38:41] offset:5632
	;; [unrolled: 1-line block ×8, first 2 shown]
	s_waitcnt lgkmcnt(0)
	s_barrier
	ds_read_b128 v[38:41], v168
	ds_read_b128 v[42:45], v168 offset:2816
	ds_read_b128 v[46:49], v168 offset:16896
	;; [unrolled: 1-line block ×8, first 2 shown]
	s_waitcnt lgkmcnt(4)
	v_mul_f64 v[0:1], v[102:103], v[56:57]
	v_fmac_f64_e32 v[0:1], v[100:101], v[54:55]
	v_mul_f64 v[4:5], v[106:107], v[48:49]
	v_mul_f64 v[2:3], v[102:103], v[54:55]
	v_fmac_f64_e32 v[4:5], v[104:105], v[46:47]
	v_mul_f64 v[6:7], v[106:107], v[46:47]
	v_add_f64 v[26:27], v[38:39], v[0:1]
	v_fma_f64 v[2:3], v[100:101], v[56:57], -v[2:3]
	v_fma_f64 v[6:7], v[104:105], v[48:49], -v[6:7]
	v_add_f64 v[46:47], v[26:27], v[4:5]
	v_add_f64 v[26:27], v[0:1], v[4:5]
	v_mul_f64 v[12:13], v[114:115], v[52:53]
	v_fmac_f64_e32 v[38:39], -0.5, v[26:27]
	v_add_f64 v[26:27], v[2:3], -v[6:7]
	s_waitcnt lgkmcnt(2)
	v_mul_f64 v[8:9], v[110:111], v[64:65]
	v_fmac_f64_e32 v[12:13], v[112:113], v[50:51]
	v_mul_f64 v[14:15], v[114:115], v[50:51]
	v_fma_f64 v[50:51], s[0:1], v[26:27], v[38:39]
	v_fmac_f64_e32 v[38:39], s[2:3], v[26:27]
	v_add_f64 v[26:27], v[40:41], v[2:3]
	v_add_f64 v[2:3], v[2:3], v[6:7]
	v_fmac_f64_e32 v[8:9], v[108:109], v[62:63]
	v_fmac_f64_e32 v[40:41], -0.5, v[2:3]
	v_add_f64 v[0:1], v[0:1], -v[4:5]
	v_mul_f64 v[10:11], v[110:111], v[62:63]
	v_fma_f64 v[14:15], v[112:113], v[52:53], -v[14:15]
	v_fma_f64 v[52:53], s[2:3], v[0:1], v[40:41]
	v_fmac_f64_e32 v[40:41], s[0:1], v[0:1]
	v_add_f64 v[0:1], v[42:43], v[8:9]
	v_fma_f64 v[10:11], v[108:109], v[64:65], -v[10:11]
	v_add_f64 v[54:55], v[0:1], v[12:13]
	v_add_f64 v[0:1], v[8:9], v[12:13]
	v_fmac_f64_e32 v[42:43], -0.5, v[0:1]
	v_add_f64 v[0:1], v[10:11], -v[14:15]
	v_fma_f64 v[62:63], s[0:1], v[0:1], v[42:43]
	v_fmac_f64_e32 v[42:43], s[2:3], v[0:1]
	v_add_f64 v[0:1], v[44:45], v[10:11]
	s_waitcnt lgkmcnt(1)
	v_mul_f64 v[16:17], v[118:119], v[68:69]
	v_add_f64 v[56:57], v[0:1], v[14:15]
	v_add_f64 v[0:1], v[10:11], v[14:15]
	v_fmac_f64_e32 v[16:17], v[116:117], v[66:67]
	s_waitcnt lgkmcnt(0)
	v_mul_f64 v[20:21], v[122:123], v[72:73]
	v_fmac_f64_e32 v[44:45], -0.5, v[0:1]
	v_add_f64 v[0:1], v[8:9], -v[12:13]
	v_mul_f64 v[18:19], v[118:119], v[66:67]
	v_fmac_f64_e32 v[20:21], v[120:121], v[70:71]
	v_mul_f64 v[24:25], v[122:123], v[70:71]
	v_fma_f64 v[64:65], s[2:3], v[0:1], v[44:45]
	v_fmac_f64_e32 v[44:45], s[0:1], v[0:1]
	v_add_f64 v[0:1], v[58:59], v[16:17]
	v_fma_f64 v[18:19], v[116:117], v[68:69], -v[18:19]
	v_fma_f64 v[24:25], v[120:121], v[72:73], -v[24:25]
	v_add_f64 v[66:67], v[0:1], v[20:21]
	v_add_f64 v[0:1], v[16:17], v[20:21]
	v_fmac_f64_e32 v[58:59], -0.5, v[0:1]
	v_add_f64 v[0:1], v[18:19], -v[24:25]
	v_fma_f64 v[70:71], s[0:1], v[0:1], v[58:59]
	v_fmac_f64_e32 v[58:59], s[2:3], v[0:1]
	v_add_f64 v[0:1], v[60:61], v[18:19]
	v_add_f64 v[68:69], v[0:1], v[24:25]
	;; [unrolled: 1-line block ×4, first 2 shown]
	v_fmac_f64_e32 v[60:61], -0.5, v[0:1]
	v_add_f64 v[0:1], v[16:17], -v[20:21]
	v_fma_f64 v[72:73], s[2:3], v[0:1], v[60:61]
	v_fmac_f64_e32 v[60:61], s[0:1], v[0:1]
	ds_write_b128 v168, v[46:49]
	ds_write_b128 v168, v[50:53] offset:8448
	ds_write_b128 v168, v[38:41] offset:16896
	;; [unrolled: 1-line block ×8, first 2 shown]
	s_waitcnt lgkmcnt(0)
	s_barrier
	ds_read_b128 v[38:41], v168
	ds_read_b128 v[42:45], v168 offset:2816
	v_mov_b32_e32 v36, v35
	v_mad_u64_u32 v[0:1], s[0:1], s11, v22, v[36:37]
	v_mov_b32_e32 v35, v0
	s_waitcnt lgkmcnt(1)
	v_mul_f64 v[0:1], v[234:235], v[40:41]
	s_mov_b32 s0, 0xa052bf5b
	v_fmac_f64_e32 v[0:1], v[232:233], v[38:39]
	s_mov_b32 s1, 0x3f44afd6
	v_mul_f64 v[36:37], v[0:1], s[0:1]
	v_mul_f64 v[0:1], v[234:235], v[38:39]
	v_fma_f64 v[0:1], v[232:233], v[40:41], -v[0:1]
	v_mad_u64_u32 v[4:5], s[2:3], s8, v172, 0
	v_mul_f64 v[38:39], v[0:1], s[0:1]
	v_mov_b32_e32 v0, v5
	v_mad_u64_u32 v[0:1], s[2:3], s9, v172, v[0:1]
	v_mov_b32_e32 v5, v0
	ds_read_b128 v[0:3], v168 offset:6336
	v_mov_b32_e32 v32, s12
	v_mov_b32_e32 v33, s13
	v_lshl_add_u64 v[6:7], v[34:35], 4, v[32:33]
	ds_read_b128 v[32:35], v168 offset:9152
	v_lshl_add_u64 v[4:5], v[4:5], 4, v[6:7]
	s_waitcnt lgkmcnt(1)
	v_mul_f64 v[6:7], v[238:239], v[2:3]
	v_fmac_f64_e32 v[6:7], v[236:237], v[0:1]
	v_mul_f64 v[0:1], v[238:239], v[0:1]
	v_fma_f64 v[0:1], v[236:237], v[2:3], -v[0:1]
	global_store_dwordx4 v[4:5], v[36:39], off
	s_mul_i32 s2, s9, 0x18c
	s_mul_hi_u32 s3, s8, 0x18c
	v_mul_f64 v[38:39], v[0:1], s[0:1]
	ds_read_b128 v[0:3], v168 offset:12672
	s_add_i32 s3, s3, s2
	s_mul_i32 s2, s8, 0x18c
	s_lshl_b64 s[2:3], s[2:3], 4
	v_mul_f64 v[36:37], v[6:7], s[0:1]
	v_lshl_add_u64 v[8:9], v[4:5], 0, s[2:3]
	ds_read_b128 v[4:7], v168 offset:15488
	s_waitcnt lgkmcnt(1)
	v_mul_f64 v[10:11], v[242:243], v[2:3]
	v_fmac_f64_e32 v[10:11], v[240:241], v[0:1]
	v_mul_f64 v[0:1], v[242:243], v[0:1]
	global_store_dwordx4 v[8:9], v[36:39], off
	v_lshl_add_u64 v[12:13], v[8:9], 0, s[2:3]
	s_mul_hi_u32 s5, s8, 0xfffffc0c
	v_mul_f64 v[36:37], v[10:11], s[0:1]
	v_fma_f64 v[10:11], v[240:241], v[2:3], -v[0:1]
	ds_read_b128 v[0:3], v168 offset:19008
	v_mul_f64 v[38:39], v[10:11], s[0:1]
	ds_read_b128 v[8:11], v168 offset:21824
	global_store_dwordx4 v[12:13], v[36:39], off
	s_mul_i32 s4, s9, 0xfffffc0c
	s_waitcnt lgkmcnt(1)
	v_mul_f64 v[14:15], v[246:247], v[2:3]
	v_fmac_f64_e32 v[14:15], v[244:245], v[0:1]
	v_mul_f64 v[0:1], v[246:247], v[0:1]
	v_fma_f64 v[0:1], v[244:245], v[2:3], -v[0:1]
	v_mul_f64 v[38:39], v[0:1], s[0:1]
	v_mul_f64 v[0:1], v[250:251], v[44:45]
	;; [unrolled: 1-line block ×3, first 2 shown]
	s_sub_i32 s5, s5, s8
	v_mul_f64 v[36:37], v[14:15], s[0:1]
	v_lshl_add_u64 v[12:13], v[12:13], 0, s[2:3]
	v_fmac_f64_e32 v[0:1], v[248:249], v[42:43]
	v_fma_f64 v[2:3], v[248:249], v[44:45], -v[2:3]
	s_add_i32 s5, s5, s4
	s_mul_i32 s4, s8, 0xfffffc0c
	global_store_dwordx4 v[12:13], v[36:39], off
	v_mul_f64 v[0:1], v[0:1], s[0:1]
	v_mul_f64 v[2:3], v[2:3], s[0:1]
	v_lshl_add_u64 v[12:13], s[4:5], 4, v[12:13]
	global_store_dwordx4 v[12:13], v[0:3], off
	v_accvgpr_read_b32 v14, a24
	v_lshl_add_u64 v[12:13], v[12:13], 0, s[2:3]
	v_mul_f64 v[0:1], v[254:255], v[34:35]
	v_mul_f64 v[2:3], v[254:255], v[32:33]
	v_fmac_f64_e32 v[0:1], v[252:253], v[32:33]
	v_fma_f64 v[2:3], v[252:253], v[34:35], -v[2:3]
	v_mul_f64 v[0:1], v[0:1], s[0:1]
	v_mul_f64 v[2:3], v[2:3], s[0:1]
	v_accvgpr_read_b32 v16, a26
	v_accvgpr_read_b32 v17, a27
	global_store_dwordx4 v[12:13], v[0:3], off
	v_accvgpr_read_b32 v15, a25
	s_nop 0
	v_mul_f64 v[0:1], v[16:17], v[6:7]
	v_mul_f64 v[2:3], v[16:17], v[4:5]
	v_fmac_f64_e32 v[0:1], v[14:15], v[4:5]
	v_fma_f64 v[2:3], v[14:15], v[6:7], -v[2:3]
	v_lshl_add_u64 v[6:7], v[12:13], 0, s[2:3]
	v_accvgpr_read_b32 v12, a28
	v_mul_f64 v[0:1], v[0:1], s[0:1]
	v_mul_f64 v[2:3], v[2:3], s[0:1]
	v_accvgpr_read_b32 v14, a30
	v_accvgpr_read_b32 v15, a31
	global_store_dwordx4 v[6:7], v[0:3], off
	v_accvgpr_read_b32 v13, a29
	s_waitcnt lgkmcnt(0)
	v_mul_f64 v[0:1], v[14:15], v[10:11]
	v_fmac_f64_e32 v[0:1], v[12:13], v[8:9]
	v_mul_f64 v[2:3], v[0:1], s[0:1]
	v_mul_f64 v[0:1], v[14:15], v[8:9]
	v_fma_f64 v[0:1], v[12:13], v[10:11], -v[0:1]
	v_mul_f64 v[4:5], v[0:1], s[0:1]
	v_lshl_add_u64 v[0:1], v[6:7], 0, s[2:3]
	global_store_dwordx4 v[0:1], v[2:5], off
	s_and_b64 exec, exec, s[6:7]
	s_cbranch_execz .LBB0_39
; %bb.38:
	v_add_co_u32_e32 v10, vcc, 0x1000, v170
	s_movk_i32 s6, 0x2000
	s_nop 0
	v_addc_co_u32_e32 v11, vcc, 0, v171, vcc
	v_add_co_u32_e32 v12, vcc, s6, v170
	s_movk_i32 s6, 0x4000
	s_nop 0
	v_addc_co_u32_e32 v13, vcc, 0, v171, vcc
	global_load_dwordx4 v[2:5], v[10:11], off offset:1536
	global_load_dwordx4 v[6:9], v[12:13], off offset:3776
	v_add_co_u32_e32 v10, vcc, s6, v170
	s_movk_i32 s6, 0x6000
	s_nop 0
	v_addc_co_u32_e32 v11, vcc, 0, v171, vcc
	v_add_co_u32_e32 v14, vcc, s6, v170
	global_load_dwordx4 v[10:13], v[10:11], off offset:1920
	s_nop 0
	v_addc_co_u32_e32 v15, vcc, 0, v171, vcc
	global_load_dwordx4 v[14:17], v[14:15], off offset:64
	ds_read_b128 v[18:21], v168 offset:5632
	ds_read_b128 v[22:25], v168 offset:11968
	;; [unrolled: 1-line block ×4, first 2 shown]
	v_lshl_add_u64 v[34:35], s[4:5], 4, v[0:1]
	v_lshl_add_u64 v[36:37], v[34:35], 0, s[2:3]
	;; [unrolled: 1-line block ×4, first 2 shown]
	s_waitcnt vmcnt(3) lgkmcnt(3)
	v_mul_f64 v[0:1], v[20:21], v[4:5]
	v_mul_f64 v[4:5], v[18:19], v[4:5]
	s_waitcnt vmcnt(2) lgkmcnt(2)
	v_mul_f64 v[42:43], v[24:25], v[8:9]
	v_mul_f64 v[8:9], v[22:23], v[8:9]
	v_fmac_f64_e32 v[0:1], v[18:19], v[2:3]
	v_fma_f64 v[2:3], v[2:3], v[20:21], -v[4:5]
	v_fmac_f64_e32 v[42:43], v[22:23], v[6:7]
	v_fma_f64 v[6:7], v[6:7], v[24:25], -v[8:9]
	v_mul_f64 v[0:1], v[0:1], s[0:1]
	s_waitcnt vmcnt(1) lgkmcnt(1)
	v_mul_f64 v[44:45], v[28:29], v[12:13]
	v_mul_f64 v[12:13], v[26:27], v[12:13]
	v_fmac_f64_e32 v[44:45], v[26:27], v[10:11]
	s_waitcnt vmcnt(0) lgkmcnt(0)
	v_mul_f64 v[46:47], v[32:33], v[16:17]
	v_mul_f64 v[16:17], v[30:31], v[16:17]
	v_fma_f64 v[10:11], v[10:11], v[28:29], -v[12:13]
	v_fmac_f64_e32 v[46:47], v[30:31], v[14:15]
	v_fma_f64 v[14:15], v[14:15], v[32:33], -v[16:17]
	v_mul_f64 v[2:3], v[2:3], s[0:1]
	v_mul_f64 v[4:5], v[42:43], s[0:1]
	;; [unrolled: 1-line block ×7, first 2 shown]
	global_store_dwordx4 v[34:35], v[0:3], off
	global_store_dwordx4 v[36:37], v[4:7], off
	;; [unrolled: 1-line block ×4, first 2 shown]
.LBB0_39:
	s_endpgm
	.section	.rodata,"a",@progbits
	.p2align	6, 0x0
	.amdhsa_kernel bluestein_single_back_len1584_dim1_dp_op_CI_CI
		.amdhsa_group_segment_fixed_size 25344
		.amdhsa_private_segment_fixed_size 0
		.amdhsa_kernarg_size 104
		.amdhsa_user_sgpr_count 2
		.amdhsa_user_sgpr_dispatch_ptr 0
		.amdhsa_user_sgpr_queue_ptr 0
		.amdhsa_user_sgpr_kernarg_segment_ptr 1
		.amdhsa_user_sgpr_dispatch_id 0
		.amdhsa_user_sgpr_kernarg_preload_length 0
		.amdhsa_user_sgpr_kernarg_preload_offset 0
		.amdhsa_user_sgpr_private_segment_size 0
		.amdhsa_uses_dynamic_stack 0
		.amdhsa_enable_private_segment 0
		.amdhsa_system_sgpr_workgroup_id_x 1
		.amdhsa_system_sgpr_workgroup_id_y 0
		.amdhsa_system_sgpr_workgroup_id_z 0
		.amdhsa_system_sgpr_workgroup_info 0
		.amdhsa_system_vgpr_workitem_id 0
		.amdhsa_next_free_vgpr 322
		.amdhsa_next_free_sgpr 50
		.amdhsa_accum_offset 256
		.amdhsa_reserve_vcc 1
		.amdhsa_float_round_mode_32 0
		.amdhsa_float_round_mode_16_64 0
		.amdhsa_float_denorm_mode_32 3
		.amdhsa_float_denorm_mode_16_64 3
		.amdhsa_dx10_clamp 1
		.amdhsa_ieee_mode 1
		.amdhsa_fp16_overflow 0
		.amdhsa_tg_split 0
		.amdhsa_exception_fp_ieee_invalid_op 0
		.amdhsa_exception_fp_denorm_src 0
		.amdhsa_exception_fp_ieee_div_zero 0
		.amdhsa_exception_fp_ieee_overflow 0
		.amdhsa_exception_fp_ieee_underflow 0
		.amdhsa_exception_fp_ieee_inexact 0
		.amdhsa_exception_int_div_zero 0
	.end_amdhsa_kernel
	.text
.Lfunc_end0:
	.size	bluestein_single_back_len1584_dim1_dp_op_CI_CI, .Lfunc_end0-bluestein_single_back_len1584_dim1_dp_op_CI_CI
                                        ; -- End function
	.section	.AMDGPU.csdata,"",@progbits
; Kernel info:
; codeLenInByte = 16864
; NumSgprs: 56
; NumVgprs: 256
; NumAgprs: 66
; TotalNumVgprs: 322
; ScratchSize: 0
; MemoryBound: 0
; FloatMode: 240
; IeeeMode: 1
; LDSByteSize: 25344 bytes/workgroup (compile time only)
; SGPRBlocks: 6
; VGPRBlocks: 40
; NumSGPRsForWavesPerEU: 56
; NumVGPRsForWavesPerEU: 322
; AccumOffset: 256
; Occupancy: 1
; WaveLimiterHint : 1
; COMPUTE_PGM_RSRC2:SCRATCH_EN: 0
; COMPUTE_PGM_RSRC2:USER_SGPR: 2
; COMPUTE_PGM_RSRC2:TRAP_HANDLER: 0
; COMPUTE_PGM_RSRC2:TGID_X_EN: 1
; COMPUTE_PGM_RSRC2:TGID_Y_EN: 0
; COMPUTE_PGM_RSRC2:TGID_Z_EN: 0
; COMPUTE_PGM_RSRC2:TIDIG_COMP_CNT: 0
; COMPUTE_PGM_RSRC3_GFX90A:ACCUM_OFFSET: 63
; COMPUTE_PGM_RSRC3_GFX90A:TG_SPLIT: 0
	.text
	.p2alignl 6, 3212836864
	.fill 256, 4, 3212836864
	.type	__hip_cuid_f701f2272339d63f,@object ; @__hip_cuid_f701f2272339d63f
	.section	.bss,"aw",@nobits
	.globl	__hip_cuid_f701f2272339d63f
__hip_cuid_f701f2272339d63f:
	.byte	0                               ; 0x0
	.size	__hip_cuid_f701f2272339d63f, 1

	.ident	"AMD clang version 19.0.0git (https://github.com/RadeonOpenCompute/llvm-project roc-6.4.0 25133 c7fe45cf4b819c5991fe208aaa96edf142730f1d)"
	.section	".note.GNU-stack","",@progbits
	.addrsig
	.addrsig_sym __hip_cuid_f701f2272339d63f
	.amdgpu_metadata
---
amdhsa.kernels:
  - .agpr_count:     66
    .args:
      - .actual_access:  read_only
        .address_space:  global
        .offset:         0
        .size:           8
        .value_kind:     global_buffer
      - .actual_access:  read_only
        .address_space:  global
        .offset:         8
        .size:           8
        .value_kind:     global_buffer
      - .actual_access:  read_only
        .address_space:  global
        .offset:         16
        .size:           8
        .value_kind:     global_buffer
      - .actual_access:  read_only
        .address_space:  global
        .offset:         24
        .size:           8
        .value_kind:     global_buffer
      - .actual_access:  read_only
        .address_space:  global
        .offset:         32
        .size:           8
        .value_kind:     global_buffer
      - .offset:         40
        .size:           8
        .value_kind:     by_value
      - .address_space:  global
        .offset:         48
        .size:           8
        .value_kind:     global_buffer
      - .address_space:  global
        .offset:         56
        .size:           8
        .value_kind:     global_buffer
      - .address_space:  global
        .offset:         64
        .size:           8
        .value_kind:     global_buffer
      - .address_space:  global
        .offset:         72
        .size:           8
        .value_kind:     global_buffer
      - .offset:         80
        .size:           4
        .value_kind:     by_value
      - .address_space:  global
        .offset:         88
        .size:           8
        .value_kind:     global_buffer
      - .address_space:  global
        .offset:         96
        .size:           8
        .value_kind:     global_buffer
    .group_segment_fixed_size: 25344
    .kernarg_segment_align: 8
    .kernarg_segment_size: 104
    .language:       OpenCL C
    .language_version:
      - 2
      - 0
    .max_flat_workgroup_size: 176
    .name:           bluestein_single_back_len1584_dim1_dp_op_CI_CI
    .private_segment_fixed_size: 0
    .sgpr_count:     56
    .sgpr_spill_count: 0
    .symbol:         bluestein_single_back_len1584_dim1_dp_op_CI_CI.kd
    .uniform_work_group_size: 1
    .uses_dynamic_stack: false
    .vgpr_count:     322
    .vgpr_spill_count: 0
    .wavefront_size: 64
amdhsa.target:   amdgcn-amd-amdhsa--gfx950
amdhsa.version:
  - 1
  - 2
...

	.end_amdgpu_metadata
